;; amdgpu-corpus repo=ROCm/rocFFT kind=compiled arch=gfx1100 opt=O3
	.text
	.amdgcn_target "amdgcn-amd-amdhsa--gfx1100"
	.amdhsa_code_object_version 6
	.protected	fft_rtc_back_len2880_factors_10_6_6_2_2_2_wgs_96_tpt_96_halfLds_dp_op_CI_CI_unitstride_sbrr_R2C_dirReg ; -- Begin function fft_rtc_back_len2880_factors_10_6_6_2_2_2_wgs_96_tpt_96_halfLds_dp_op_CI_CI_unitstride_sbrr_R2C_dirReg
	.globl	fft_rtc_back_len2880_factors_10_6_6_2_2_2_wgs_96_tpt_96_halfLds_dp_op_CI_CI_unitstride_sbrr_R2C_dirReg
	.p2align	8
	.type	fft_rtc_back_len2880_factors_10_6_6_2_2_2_wgs_96_tpt_96_halfLds_dp_op_CI_CI_unitstride_sbrr_R2C_dirReg,@function
fft_rtc_back_len2880_factors_10_6_6_2_2_2_wgs_96_tpt_96_halfLds_dp_op_CI_CI_unitstride_sbrr_R2C_dirReg: ; @fft_rtc_back_len2880_factors_10_6_6_2_2_2_wgs_96_tpt_96_halfLds_dp_op_CI_CI_unitstride_sbrr_R2C_dirReg
; %bb.0:
	s_clause 0x2
	s_load_b128 s[8:11], s[0:1], 0x0
	s_load_b128 s[4:7], s[0:1], 0x58
	;; [unrolled: 1-line block ×3, first 2 shown]
	v_mul_u32_u24_e32 v1, 0x2ab, v0
	v_mov_b32_e32 v3, 0
	s_delay_alu instid0(VALU_DEP_2) | instskip(NEXT) | instid1(VALU_DEP_1)
	v_lshrrev_b32_e32 v1, 16, v1
	v_add_nc_u32_e32 v5, s15, v1
	v_mov_b32_e32 v1, 0
	v_mov_b32_e32 v2, 0
	;; [unrolled: 1-line block ×3, first 2 shown]
	s_waitcnt lgkmcnt(0)
	v_cmp_lt_u64_e64 s2, s[10:11], 2
	s_delay_alu instid0(VALU_DEP_1)
	s_and_b32 vcc_lo, exec_lo, s2
	s_cbranch_vccnz .LBB0_8
; %bb.1:
	s_load_b64 s[2:3], s[0:1], 0x10
	v_mov_b32_e32 v1, 0
	v_mov_b32_e32 v2, 0
	s_add_u32 s12, s18, 8
	s_addc_u32 s13, s19, 0
	s_add_u32 s14, s16, 8
	s_addc_u32 s15, s17, 0
	v_dual_mov_b32 v143, v2 :: v_dual_mov_b32 v142, v1
	s_mov_b64 s[22:23], 1
	s_waitcnt lgkmcnt(0)
	s_add_u32 s20, s2, 8
	s_addc_u32 s21, s3, 0
.LBB0_2:                                ; =>This Inner Loop Header: Depth=1
	s_load_b64 s[24:25], s[20:21], 0x0
                                        ; implicit-def: $vgpr144_vgpr145
	s_mov_b32 s2, exec_lo
	s_waitcnt lgkmcnt(0)
	v_or_b32_e32 v4, s25, v6
	s_delay_alu instid0(VALU_DEP_1)
	v_cmpx_ne_u64_e32 0, v[3:4]
	s_xor_b32 s3, exec_lo, s2
	s_cbranch_execz .LBB0_4
; %bb.3:                                ;   in Loop: Header=BB0_2 Depth=1
	v_cvt_f32_u32_e32 v4, s24
	v_cvt_f32_u32_e32 v7, s25
	s_sub_u32 s2, 0, s24
	s_subb_u32 s26, 0, s25
	s_delay_alu instid0(VALU_DEP_1) | instskip(NEXT) | instid1(VALU_DEP_1)
	v_fmac_f32_e32 v4, 0x4f800000, v7
	v_rcp_f32_e32 v4, v4
	s_waitcnt_depctr 0xfff
	v_mul_f32_e32 v4, 0x5f7ffffc, v4
	s_delay_alu instid0(VALU_DEP_1) | instskip(NEXT) | instid1(VALU_DEP_1)
	v_mul_f32_e32 v7, 0x2f800000, v4
	v_trunc_f32_e32 v7, v7
	s_delay_alu instid0(VALU_DEP_1) | instskip(SKIP_1) | instid1(VALU_DEP_2)
	v_fmac_f32_e32 v4, 0xcf800000, v7
	v_cvt_u32_f32_e32 v7, v7
	v_cvt_u32_f32_e32 v4, v4
	s_delay_alu instid0(VALU_DEP_2) | instskip(NEXT) | instid1(VALU_DEP_2)
	v_mul_lo_u32 v8, s2, v7
	v_mul_hi_u32 v9, s2, v4
	v_mul_lo_u32 v10, s26, v4
	s_delay_alu instid0(VALU_DEP_2) | instskip(SKIP_1) | instid1(VALU_DEP_2)
	v_add_nc_u32_e32 v8, v9, v8
	v_mul_lo_u32 v9, s2, v4
	v_add_nc_u32_e32 v8, v8, v10
	s_delay_alu instid0(VALU_DEP_2) | instskip(NEXT) | instid1(VALU_DEP_2)
	v_mul_hi_u32 v10, v4, v9
	v_mul_lo_u32 v11, v4, v8
	v_mul_hi_u32 v12, v4, v8
	v_mul_hi_u32 v13, v7, v9
	v_mul_lo_u32 v9, v7, v9
	v_mul_hi_u32 v14, v7, v8
	v_mul_lo_u32 v8, v7, v8
	v_add_co_u32 v10, vcc_lo, v10, v11
	v_add_co_ci_u32_e32 v11, vcc_lo, 0, v12, vcc_lo
	s_delay_alu instid0(VALU_DEP_2) | instskip(NEXT) | instid1(VALU_DEP_2)
	v_add_co_u32 v9, vcc_lo, v10, v9
	v_add_co_ci_u32_e32 v9, vcc_lo, v11, v13, vcc_lo
	v_add_co_ci_u32_e32 v10, vcc_lo, 0, v14, vcc_lo
	s_delay_alu instid0(VALU_DEP_2) | instskip(NEXT) | instid1(VALU_DEP_2)
	v_add_co_u32 v8, vcc_lo, v9, v8
	v_add_co_ci_u32_e32 v9, vcc_lo, 0, v10, vcc_lo
	s_delay_alu instid0(VALU_DEP_2) | instskip(NEXT) | instid1(VALU_DEP_2)
	v_add_co_u32 v4, vcc_lo, v4, v8
	v_add_co_ci_u32_e32 v7, vcc_lo, v7, v9, vcc_lo
	s_delay_alu instid0(VALU_DEP_2) | instskip(SKIP_1) | instid1(VALU_DEP_3)
	v_mul_hi_u32 v8, s2, v4
	v_mul_lo_u32 v10, s26, v4
	v_mul_lo_u32 v9, s2, v7
	s_delay_alu instid0(VALU_DEP_1) | instskip(SKIP_1) | instid1(VALU_DEP_2)
	v_add_nc_u32_e32 v8, v8, v9
	v_mul_lo_u32 v9, s2, v4
	v_add_nc_u32_e32 v8, v8, v10
	s_delay_alu instid0(VALU_DEP_2) | instskip(NEXT) | instid1(VALU_DEP_2)
	v_mul_hi_u32 v10, v4, v9
	v_mul_lo_u32 v11, v4, v8
	v_mul_hi_u32 v12, v4, v8
	v_mul_hi_u32 v13, v7, v9
	v_mul_lo_u32 v9, v7, v9
	v_mul_hi_u32 v14, v7, v8
	v_mul_lo_u32 v8, v7, v8
	v_add_co_u32 v10, vcc_lo, v10, v11
	v_add_co_ci_u32_e32 v11, vcc_lo, 0, v12, vcc_lo
	s_delay_alu instid0(VALU_DEP_2) | instskip(NEXT) | instid1(VALU_DEP_2)
	v_add_co_u32 v9, vcc_lo, v10, v9
	v_add_co_ci_u32_e32 v9, vcc_lo, v11, v13, vcc_lo
	v_add_co_ci_u32_e32 v10, vcc_lo, 0, v14, vcc_lo
	s_delay_alu instid0(VALU_DEP_2) | instskip(NEXT) | instid1(VALU_DEP_2)
	v_add_co_u32 v8, vcc_lo, v9, v8
	v_add_co_ci_u32_e32 v9, vcc_lo, 0, v10, vcc_lo
	s_delay_alu instid0(VALU_DEP_2) | instskip(NEXT) | instid1(VALU_DEP_2)
	v_add_co_u32 v4, vcc_lo, v4, v8
	v_add_co_ci_u32_e32 v13, vcc_lo, v7, v9, vcc_lo
	s_delay_alu instid0(VALU_DEP_2) | instskip(SKIP_1) | instid1(VALU_DEP_3)
	v_mul_hi_u32 v14, v5, v4
	v_mad_u64_u32 v[9:10], null, v6, v4, 0
	v_mad_u64_u32 v[7:8], null, v5, v13, 0
	;; [unrolled: 1-line block ×3, first 2 shown]
	s_delay_alu instid0(VALU_DEP_2) | instskip(NEXT) | instid1(VALU_DEP_3)
	v_add_co_u32 v4, vcc_lo, v14, v7
	v_add_co_ci_u32_e32 v7, vcc_lo, 0, v8, vcc_lo
	s_delay_alu instid0(VALU_DEP_2) | instskip(NEXT) | instid1(VALU_DEP_2)
	v_add_co_u32 v4, vcc_lo, v4, v9
	v_add_co_ci_u32_e32 v4, vcc_lo, v7, v10, vcc_lo
	v_add_co_ci_u32_e32 v7, vcc_lo, 0, v12, vcc_lo
	s_delay_alu instid0(VALU_DEP_2) | instskip(NEXT) | instid1(VALU_DEP_2)
	v_add_co_u32 v4, vcc_lo, v4, v11
	v_add_co_ci_u32_e32 v9, vcc_lo, 0, v7, vcc_lo
	s_delay_alu instid0(VALU_DEP_2) | instskip(SKIP_1) | instid1(VALU_DEP_3)
	v_mul_lo_u32 v10, s25, v4
	v_mad_u64_u32 v[7:8], null, s24, v4, 0
	v_mul_lo_u32 v11, s24, v9
	s_delay_alu instid0(VALU_DEP_2) | instskip(NEXT) | instid1(VALU_DEP_2)
	v_sub_co_u32 v7, vcc_lo, v5, v7
	v_add3_u32 v8, v8, v11, v10
	s_delay_alu instid0(VALU_DEP_1) | instskip(NEXT) | instid1(VALU_DEP_1)
	v_sub_nc_u32_e32 v10, v6, v8
	v_subrev_co_ci_u32_e64 v10, s2, s25, v10, vcc_lo
	v_add_co_u32 v11, s2, v4, 2
	s_delay_alu instid0(VALU_DEP_1) | instskip(SKIP_3) | instid1(VALU_DEP_3)
	v_add_co_ci_u32_e64 v12, s2, 0, v9, s2
	v_sub_co_u32 v13, s2, v7, s24
	v_sub_co_ci_u32_e32 v8, vcc_lo, v6, v8, vcc_lo
	v_subrev_co_ci_u32_e64 v10, s2, 0, v10, s2
	v_cmp_le_u32_e32 vcc_lo, s24, v13
	s_delay_alu instid0(VALU_DEP_3) | instskip(SKIP_1) | instid1(VALU_DEP_4)
	v_cmp_eq_u32_e64 s2, s25, v8
	v_cndmask_b32_e64 v13, 0, -1, vcc_lo
	v_cmp_le_u32_e32 vcc_lo, s25, v10
	v_cndmask_b32_e64 v14, 0, -1, vcc_lo
	v_cmp_le_u32_e32 vcc_lo, s24, v7
	;; [unrolled: 2-line block ×3, first 2 shown]
	v_cndmask_b32_e64 v15, 0, -1, vcc_lo
	v_cmp_eq_u32_e32 vcc_lo, s25, v10
	s_delay_alu instid0(VALU_DEP_2) | instskip(SKIP_3) | instid1(VALU_DEP_3)
	v_cndmask_b32_e64 v7, v15, v7, s2
	v_cndmask_b32_e32 v10, v14, v13, vcc_lo
	v_add_co_u32 v13, vcc_lo, v4, 1
	v_add_co_ci_u32_e32 v14, vcc_lo, 0, v9, vcc_lo
	v_cmp_ne_u32_e32 vcc_lo, 0, v10
	s_delay_alu instid0(VALU_DEP_2) | instskip(NEXT) | instid1(VALU_DEP_4)
	v_cndmask_b32_e32 v8, v14, v12, vcc_lo
	v_cndmask_b32_e32 v10, v13, v11, vcc_lo
	v_cmp_ne_u32_e32 vcc_lo, 0, v7
	s_delay_alu instid0(VALU_DEP_2)
	v_dual_cndmask_b32 v145, v9, v8 :: v_dual_cndmask_b32 v144, v4, v10
.LBB0_4:                                ;   in Loop: Header=BB0_2 Depth=1
	s_and_not1_saveexec_b32 s2, s3
	s_cbranch_execz .LBB0_6
; %bb.5:                                ;   in Loop: Header=BB0_2 Depth=1
	v_cvt_f32_u32_e32 v4, s24
	s_sub_i32 s3, 0, s24
	v_mov_b32_e32 v145, v3
	s_delay_alu instid0(VALU_DEP_2) | instskip(SKIP_2) | instid1(VALU_DEP_1)
	v_rcp_iflag_f32_e32 v4, v4
	s_waitcnt_depctr 0xfff
	v_mul_f32_e32 v4, 0x4f7ffffe, v4
	v_cvt_u32_f32_e32 v4, v4
	s_delay_alu instid0(VALU_DEP_1) | instskip(NEXT) | instid1(VALU_DEP_1)
	v_mul_lo_u32 v7, s3, v4
	v_mul_hi_u32 v7, v4, v7
	s_delay_alu instid0(VALU_DEP_1) | instskip(NEXT) | instid1(VALU_DEP_1)
	v_add_nc_u32_e32 v4, v4, v7
	v_mul_hi_u32 v4, v5, v4
	s_delay_alu instid0(VALU_DEP_1) | instskip(SKIP_1) | instid1(VALU_DEP_2)
	v_mul_lo_u32 v7, v4, s24
	v_add_nc_u32_e32 v8, 1, v4
	v_sub_nc_u32_e32 v7, v5, v7
	s_delay_alu instid0(VALU_DEP_1) | instskip(SKIP_1) | instid1(VALU_DEP_2)
	v_subrev_nc_u32_e32 v9, s24, v7
	v_cmp_le_u32_e32 vcc_lo, s24, v7
	v_dual_cndmask_b32 v7, v7, v9 :: v_dual_cndmask_b32 v4, v4, v8
	s_delay_alu instid0(VALU_DEP_1) | instskip(NEXT) | instid1(VALU_DEP_2)
	v_cmp_le_u32_e32 vcc_lo, s24, v7
	v_add_nc_u32_e32 v8, 1, v4
	s_delay_alu instid0(VALU_DEP_1)
	v_cndmask_b32_e32 v144, v4, v8, vcc_lo
.LBB0_6:                                ;   in Loop: Header=BB0_2 Depth=1
	s_or_b32 exec_lo, exec_lo, s2
	s_delay_alu instid0(VALU_DEP_1) | instskip(NEXT) | instid1(VALU_DEP_2)
	v_mul_lo_u32 v4, v145, s24
	v_mul_lo_u32 v9, v144, s25
	s_load_b64 s[2:3], s[14:15], 0x0
	v_mad_u64_u32 v[7:8], null, v144, s24, 0
	s_load_b64 s[24:25], s[12:13], 0x0
	s_add_u32 s22, s22, 1
	s_addc_u32 s23, s23, 0
	s_add_u32 s12, s12, 8
	s_addc_u32 s13, s13, 0
	s_add_u32 s14, s14, 8
	s_delay_alu instid0(VALU_DEP_1) | instskip(SKIP_3) | instid1(VALU_DEP_2)
	v_add3_u32 v4, v8, v9, v4
	v_sub_co_u32 v8, vcc_lo, v5, v7
	s_addc_u32 s15, s15, 0
	s_add_u32 s20, s20, 8
	v_sub_co_ci_u32_e32 v6, vcc_lo, v6, v4, vcc_lo
	s_addc_u32 s21, s21, 0
	s_waitcnt lgkmcnt(0)
	s_delay_alu instid0(VALU_DEP_1)
	v_mul_lo_u32 v9, s2, v6
	v_mul_lo_u32 v10, s3, v8
	v_mad_u64_u32 v[4:5], null, s2, v8, v[1:2]
	v_mul_lo_u32 v11, s24, v6
	v_mul_lo_u32 v12, s25, v8
	v_mad_u64_u32 v[6:7], null, s24, v8, v[142:143]
	v_cmp_ge_u64_e64 s2, s[22:23], s[10:11]
	v_add3_u32 v2, v10, v5, v9
	s_delay_alu instid0(VALU_DEP_3) | instskip(NEXT) | instid1(VALU_DEP_4)
	v_dual_mov_b32 v1, v4 :: v_dual_mov_b32 v142, v6
	v_add3_u32 v143, v12, v7, v11
	s_delay_alu instid0(VALU_DEP_4)
	s_and_b32 vcc_lo, exec_lo, s2
	s_cbranch_vccnz .LBB0_9
; %bb.7:                                ;   in Loop: Header=BB0_2 Depth=1
	v_dual_mov_b32 v5, v144 :: v_dual_mov_b32 v6, v145
	s_branch .LBB0_2
.LBB0_8:
	v_dual_mov_b32 v143, v2 :: v_dual_mov_b32 v142, v1
	v_dual_mov_b32 v145, v6 :: v_dual_mov_b32 v144, v5
.LBB0_9:
	s_load_b64 s[0:1], s[0:1], 0x28
	v_mul_hi_u32 v3, 0x2aaaaab, v0
	s_lshl_b64 s[10:11], s[10:11], 3
                                        ; implicit-def: $vgpr140
                                        ; implicit-def: $vgpr146
                                        ; implicit-def: $vgpr148
                                        ; implicit-def: $vgpr170
                                        ; implicit-def: $vgpr160
                                        ; implicit-def: $vgpr172
                                        ; implicit-def: $vgpr166
                                        ; implicit-def: $vgpr168
                                        ; implicit-def: $vgpr164
                                        ; implicit-def: $vgpr152
                                        ; implicit-def: $vgpr162
                                        ; implicit-def: $vgpr158
                                        ; implicit-def: $vgpr150
                                        ; implicit-def: $vgpr156
                                        ; implicit-def: $vgpr154
	s_delay_alu instid0(SALU_CYCLE_1) | instskip(SKIP_4) | instid1(VALU_DEP_1)
	s_add_u32 s2, s18, s10
	s_addc_u32 s3, s19, s11
	s_waitcnt lgkmcnt(0)
	v_cmp_gt_u64_e32 vcc_lo, s[0:1], v[144:145]
	v_cmp_le_u64_e64 s0, s[0:1], v[144:145]
	s_and_saveexec_b32 s1, s0
	s_delay_alu instid0(SALU_CYCLE_1)
	s_xor_b32 s0, exec_lo, s1
	s_cbranch_execz .LBB0_11
; %bb.10:
	v_mul_u32_u24_e32 v1, 0x60, v3
                                        ; implicit-def: $vgpr3
	v_mov_b32_e32 v141, 0
	s_delay_alu instid0(VALU_DEP_2) | instskip(NEXT) | instid1(VALU_DEP_2)
	v_sub_nc_u32_e32 v140, v0, v1
                                        ; implicit-def: $vgpr0
                                        ; implicit-def: $vgpr1_vgpr2
	v_mov_b32_e32 v147, v141
	v_mov_b32_e32 v149, v141
	;; [unrolled: 1-line block ×3, first 2 shown]
	s_delay_alu instid0(VALU_DEP_4)
	v_dual_mov_b32 v167, v141 :: v_dual_add_nc_u32 v146, 0x60, v140
	v_add_nc_u32_e32 v148, 0xc0, v140
	v_add_nc_u32_e32 v170, 0x1e0, v140
	v_add_nc_u32_e32 v160, 0x3c0, v140
	v_add_nc_u32_e32 v172, 0x120, v140
	v_or_b32_e32 v166, 0x180, v140
	v_dual_mov_b32 v171, v141 :: v_dual_add_nc_u32 v168, 0x240, v140
	v_dual_mov_b32 v169, v141 :: v_dual_add_nc_u32 v164, 0x2a0, v140
	v_or_b32_e32 v152, 0x300, v140
	v_dual_mov_b32 v165, v141 :: v_dual_add_nc_u32 v162, 0x360, v140
	v_dual_mov_b32 v153, v141 :: v_dual_add_nc_u32 v158, 0x420, v140
	;; [unrolled: 3-line block ×3, first 2 shown]
	v_mov_b32_e32 v159, v141
	v_mov_b32_e32 v151, v141
	;; [unrolled: 1-line block ×4, first 2 shown]
.LBB0_11:
	s_and_not1_saveexec_b32 s1, s0
	s_cbranch_execz .LBB0_13
; %bb.12:
	s_add_u32 s10, s16, s10
	s_addc_u32 s11, s17, s11
	v_mul_u32_u24_e32 v5, 0x60, v3
	s_load_b64 s[10:11], s[10:11], 0x0
	v_mov_b32_e32 v141, 0
	s_delay_alu instid0(VALU_DEP_2) | instskip(SKIP_1) | instid1(VALU_DEP_3)
	v_sub_nc_u32_e32 v140, v0, v5
	v_lshlrev_b64 v[0:1], 4, v[1:2]
	v_mov_b32_e32 v149, v141
	v_mov_b32_e32 v173, v141
	s_delay_alu instid0(VALU_DEP_4)
	v_dual_mov_b32 v167, v141 :: v_dual_add_nc_u32 v148, 0xc0, v140
	v_or_b32_e32 v166, 0x180, v140
	v_lshlrev_b32_e32 v120, 4, v140
	v_or_b32_e32 v152, 0x300, v140
	v_or_b32_e32 v150, 0x480, v140
	v_dual_mov_b32 v171, v141 :: v_dual_add_nc_u32 v172, 0x120, v140
	s_delay_alu instid0(VALU_DEP_4) | instskip(NEXT) | instid1(VALU_DEP_4)
	v_or_b32_e32 v43, 0x6000, v120
	v_lshlrev_b32_e32 v5, 4, v152
	s_delay_alu instid0(VALU_DEP_4)
	v_lshlrev_b32_e32 v42, 4, v150
	v_or_b32_e32 v46, 0x7800, v120
	s_waitcnt lgkmcnt(0)
	v_mul_lo_u32 v6, s11, v144
	v_mul_lo_u32 v7, s10, v145
	v_mad_u64_u32 v[3:4], null, s10, v144, 0
	v_or_b32_e32 v47, 0x9000, v120
	v_or_b32_e32 v50, 0xa800, v120
	v_dual_mov_b32 v169, v141 :: v_dual_add_nc_u32 v170, 0x1e0, v140
	v_dual_mov_b32 v165, v141 :: v_dual_add_nc_u32 v168, 0x240, v140
	v_add3_u32 v4, v4, v7, v6
	v_dual_mov_b32 v153, v141 :: v_dual_add_nc_u32 v164, 0x2a0, v140
	v_mov_b32_e32 v147, v141
	v_dual_mov_b32 v163, v141 :: v_dual_add_nc_u32 v162, 0x360, v140
	s_delay_alu instid0(VALU_DEP_4) | instskip(SKIP_3) | instid1(VALU_DEP_4)
	v_lshlrev_b64 v[2:3], 4, v[3:4]
	v_dual_mov_b32 v161, v141 :: v_dual_lshlrev_b32 v4, 4, v166
	v_dual_mov_b32 v159, v141 :: v_dual_add_nc_u32 v160, 0x3c0, v140
	v_dual_mov_b32 v151, v141 :: v_dual_add_nc_u32 v158, 0x420, v140
	v_add_co_u32 v2, s0, s4, v2
	s_delay_alu instid0(VALU_DEP_1) | instskip(SKIP_1) | instid1(VALU_DEP_3)
	v_add_co_ci_u32_e64 v3, s0, s5, v3, s0
	v_dual_mov_b32 v157, v141 :: v_dual_add_nc_u32 v156, 0x4e0, v140
	v_add_co_u32 v44, s0, v2, v0
	s_delay_alu instid0(VALU_DEP_1) | instskip(SKIP_1) | instid1(VALU_DEP_3)
	v_add_co_ci_u32_e64 v45, s0, v3, v1, s0
	v_dual_mov_b32 v155, v141 :: v_dual_add_nc_u32 v154, 0x540, v140
	v_add_co_u32 v64, s0, v44, v120
	s_delay_alu instid0(VALU_DEP_1) | instskip(SKIP_1) | instid1(VALU_DEP_1)
	v_add_co_ci_u32_e64 v65, s0, 0, v45, s0
	v_add_co_u32 v16, s0, v44, v4
	v_add_co_ci_u32_e64 v17, s0, 0, v45, s0
	v_add_co_u32 v32, s0, v44, v5
	s_delay_alu instid0(VALU_DEP_1) | instskip(SKIP_1) | instid1(VALU_DEP_1)
	v_add_co_ci_u32_e64 v33, s0, 0, v45, s0
	v_add_co_u32 v20, s0, 0x1000, v64
	v_add_co_ci_u32_e64 v21, s0, 0, v65, s0
	;; [unrolled: 5-line block ×9, first 2 shown]
	s_clause 0x1d
	global_load_b128 v[0:3], v[64:65], off
	global_load_b128 v[4:7], v[64:65], off offset:1536
	global_load_b128 v[8:11], v[64:65], off offset:3072
	global_load_b128 v[12:15], v[20:21], off offset:512
	global_load_b128 v[16:19], v[16:17], off
	global_load_b128 v[20:23], v[20:21], off offset:3584
	global_load_b128 v[24:27], v[28:29], off offset:1024
	global_load_b128 v[28:31], v[28:29], off offset:2560
	;; [unrolled: 4-line block ×7, first 2 shown]
	global_load_b128 v[112:115], v[112:113], off
	global_load_b128 v[116:119], v[116:117], off offset:3584
	v_add_nc_u32_e32 v146, 0x60, v140
	v_add_nc_u32_e32 v120, 0, v120
	s_waitcnt vmcnt(29)
	ds_store_b128 v120, v[0:3]
	s_waitcnt vmcnt(28)
	ds_store_b128 v120, v[4:7] offset:1536
	s_waitcnt vmcnt(27)
	ds_store_b128 v120, v[8:11] offset:3072
	;; [unrolled: 2-line block ×29, first 2 shown]
.LBB0_13:
	s_or_b32 exec_lo, exec_lo, s1
	v_lshlrev_b32_e32 v189, 4, v140
	s_load_b64 s[2:3], s[2:3], 0x0
	s_waitcnt lgkmcnt(0)
	s_barrier
	buffer_gl0_inv
	v_add_nc_u32_e32 v188, 0, v189
	s_mov_b32 s10, 0x134454ff
	s_mov_b32 s11, 0xbfee6f0e
	;; [unrolled: 1-line block ×4, first 2 shown]
	ds_load_b128 v[4:7], v188 offset:9216
	ds_load_b128 v[0:3], v188
	ds_load_b128 v[24:27], v188 offset:1536
	ds_load_b128 v[12:15], v188 offset:10752
	ds_load_b128 v[36:39], v188 offset:13824
	ds_load_b128 v[32:35], v188 offset:4608
	ds_load_b128 v[44:47], v188 offset:18432
	ds_load_b128 v[20:23], v188 offset:19968
	ds_load_b128 v[40:43], v188 offset:27648
	ds_load_b128 v[16:19], v188 offset:29184
	ds_load_b128 v[28:31], v188 offset:36864
	ds_load_b128 v[8:11], v188 offset:38400
	ds_load_b128 v[60:63], v188 offset:3072
	ds_load_b128 v[64:67], v188 offset:12288
	ds_load_b128 v[68:71], v188 offset:23040
	ds_load_b128 v[72:75], v188 offset:21504
	ds_load_b128 v[76:79], v188 offset:32256
	ds_load_b128 v[52:55], v188 offset:30720
	ds_load_b128 v[80:83], v188 offset:41472
	ds_load_b128 v[48:51], v188 offset:39936
	ds_load_b128 v[84:87], v188 offset:24576
	ds_load_b128 v[88:91], v188 offset:26112
	ds_load_b128 v[92:95], v188 offset:33792
	ds_load_b128 v[96:99], v188 offset:35328
	ds_load_b128 v[100:103], v188 offset:15360
	ds_load_b128 v[104:107], v188 offset:16896
	s_waitcnt lgkmcnt(20)
	v_add_f64 v[116:117], v[32:33], v[36:37]
	v_add_f64 v[118:119], v[34:35], v[38:39]
	s_waitcnt lgkmcnt(17)
	v_add_f64 v[120:121], v[44:45], v[40:41]
	v_add_f64 v[136:137], v[46:47], v[42:43]
	v_add_f64 v[124:125], v[46:47], -v[42:43]
	s_waitcnt lgkmcnt(16)
	v_add_f64 v[186:187], v[20:21], v[16:17]
	s_waitcnt lgkmcnt(15)
	v_add_f64 v[196:197], v[28:29], -v[40:41]
	v_add_f64 v[200:201], v[30:31], -v[42:43]
	;; [unrolled: 1-line block ×3, first 2 shown]
	v_add_f64 v[192:193], v[22:23], v[18:19]
	s_waitcnt lgkmcnt(9)
	v_add_f64 v[176:177], v[70:71], v[78:79]
	v_add_f64 v[178:179], v[68:69], v[76:77]
	s_waitcnt lgkmcnt(7)
	v_add_f64 v[182:183], v[38:39], v[82:83]
	v_add_f64 v[180:181], v[36:37], v[80:81]
	v_add_f64 v[198:199], v[40:41], -v[28:29]
	v_add_f64 v[130:131], v[4:5], v[28:29]
	v_add_f64 v[58:59], v[2:3], v[6:7]
	;; [unrolled: 1-line block ×3, first 2 shown]
	v_add_f64 v[126:127], v[4:5], -v[44:45]
	v_add_f64 v[132:133], v[24:25], v[12:13]
	v_add_f64 v[138:139], v[6:7], v[30:31]
	;; [unrolled: 1-line block ×3, first 2 shown]
	v_add_f64 v[122:123], v[6:7], -v[30:31]
	v_add_f64 v[128:129], v[44:45], -v[4:5]
	;; [unrolled: 1-line block ×4, first 2 shown]
	v_add_f64 v[134:135], v[26:27], v[14:15]
	v_add_f64 v[194:195], v[14:15], v[10:11]
	s_waitcnt lgkmcnt(3)
	v_add_f64 v[204:205], v[86:87], v[94:95]
	v_add_f64 v[206:207], v[84:85], v[92:93]
	v_add_f64 v[212:213], v[70:71], -v[78:79]
	v_add_f64 v[214:215], v[36:37], -v[68:69]
	;; [unrolled: 1-line block ×4, first 2 shown]
	s_mov_b32 s12, 0x4755a5e
	s_mov_b32 s13, 0xbfe2cf23
	;; [unrolled: 1-line block ×5, first 2 shown]
	v_add_f64 v[70:71], v[118:119], v[70:71]
	v_fma_f64 v[120:121], v[120:121], -0.5, v[0:1]
	v_add_f64 v[118:119], v[36:37], -v[80:81]
	s_mov_b32 s15, 0x3fd3c6ef
	s_mov_b32 s20, 0x9b97f4a8
	;; [unrolled: 1-line block ×7, first 2 shown]
	v_add_f64 v[222:223], v[74:75], -v[54:55]
	v_subrev_nc_u32_e32 v242, 48, v140
	v_fma_f64 v[0:1], v[130:131], -0.5, v[0:1]
	v_add_f64 v[114:115], v[58:59], v[46:47]
	v_add_f64 v[112:113], v[56:57], v[44:45]
	v_fma_f64 v[130:131], v[136:137], -0.5, v[2:3]
	v_fma_f64 v[136:137], v[176:177], -0.5, v[34:35]
	;; [unrolled: 1-line block ×3, first 2 shown]
	ds_load_b128 v[108:111], v188 offset:43008
	ds_load_b128 v[56:59], v188 offset:44544
	v_add_f64 v[46:47], v[46:47], -v[6:7]
	ds_load_b128 v[4:7], v188 offset:6144
	v_add_f64 v[44:45], v[44:45], -v[40:41]
	v_add_f64 v[132:133], v[132:133], v[20:21]
	v_fma_f64 v[2:3], v[138:139], -0.5, v[2:3]
	v_fma_f64 v[138:139], v[178:179], -0.5, v[32:33]
	;; [unrolled: 1-line block ×3, first 2 shown]
	v_add_f64 v[176:177], v[80:81], -v[76:77]
	v_fma_f64 v[180:181], v[186:187], -0.5, v[24:25]
	v_fma_f64 v[24:25], v[190:191], -0.5, v[24:25]
	v_add_f64 v[126:127], v[126:127], v[196:197]
	v_add_f64 v[134:135], v[134:135], v[22:23]
	v_add_f64 v[178:179], v[22:23], -v[18:19]
	v_fma_f64 v[182:183], v[192:193], -0.5, v[26:27]
	v_fma_f64 v[26:27], v[194:195], -0.5, v[26:27]
	v_add_f64 v[128:129], v[128:129], v[198:199]
	s_waitcnt lgkmcnt(4)
	v_add_f64 v[198:199], v[100:101], -v[84:85]
	v_add_f64 v[70:71], v[70:71], v[78:79]
	s_waitcnt lgkmcnt(2)
	v_add_f64 v[208:209], v[100:101], v[108:109]
	v_add_f64 v[210:211], v[102:103], v[110:111]
	;; [unrolled: 1-line block ×3, first 2 shown]
	v_add_f64 v[200:201], v[86:87], -v[94:95]
	v_add_f64 v[42:43], v[114:115], v[42:43]
	v_add_f64 v[114:115], v[68:69], -v[76:77]
	v_add_f64 v[40:41], v[112:113], v[40:41]
	;; [unrolled: 2-line block ×3, first 2 shown]
	v_add_f64 v[116:117], v[38:39], -v[82:83]
	ds_load_b128 v[36:39], v188 offset:7680
	s_waitcnt lgkmcnt(1)
	v_add_f64 v[186:187], v[4:5], v[100:101]
	v_add_f64 v[190:191], v[6:7], v[102:103]
	v_fma_f64 v[192:193], v[204:205], -0.5, v[6:7]
	v_fma_f64 v[194:195], v[206:207], -0.5, v[4:5]
	v_add_f64 v[204:205], v[12:13], -v[20:21]
	v_add_f64 v[206:207], v[20:21], -v[12:13]
	v_add_f64 v[132:133], v[132:133], v[16:17]
	v_add_f64 v[176:177], v[214:215], v[176:177]
	v_fma_f64 v[214:215], v[118:119], s[0:1], v[136:137]
	v_fma_f64 v[136:137], v[118:119], s[10:11], v[136:137]
	v_add_f64 v[46:47], v[46:47], v[202:203]
	v_add_f64 v[202:203], v[84:85], -v[100:101]
	v_add_f64 v[100:101], v[100:101], -v[108:109]
	v_add_f64 v[134:135], v[134:135], v[18:19]
	v_add_f64 v[12:13], v[12:13], -v[8:9]
	s_waitcnt lgkmcnt(0)
	v_add_f64 v[70:71], v[70:71], v[82:83]
	v_fma_f64 v[4:5], v[208:209], -0.5, v[4:5]
	v_add_f64 v[208:209], v[8:9], -v[16:17]
	v_fma_f64 v[6:7], v[210:211], -0.5, v[6:7]
	v_add_f64 v[210:211], v[10:11], -v[18:19]
	v_add_f64 v[18:19], v[18:19], -v[10:11]
	s_barrier
	buffer_gl0_inv
	v_add_f64 v[30:31], v[42:43], v[30:31]
	v_fma_f64 v[196:197], v[114:115], s[10:11], v[34:35]
	v_fma_f64 v[34:35], v[114:115], s[0:1], v[34:35]
	v_add_f64 v[28:29], v[40:41], v[28:29]
	v_add_f64 v[40:41], v[20:21], -v[16:17]
	v_add_f64 v[42:43], v[14:15], -v[22:23]
	;; [unrolled: 1-line block ×4, first 2 shown]
	v_add_f64 v[68:69], v[68:69], v[76:77]
	v_add_f64 v[76:77], v[82:83], -v[78:79]
	v_add_f64 v[16:17], v[16:17], -v[8:9]
	v_add_f64 v[186:187], v[186:187], v[84:85]
	v_add_f64 v[190:191], v[190:191], v[86:87]
	v_add_f64 v[78:79], v[78:79], -v[82:83]
	v_add_f64 v[84:85], v[84:85], -v[92:93]
	v_fma_f64 v[214:215], v[114:115], s[4:5], v[214:215]
	v_fma_f64 v[114:115], v[114:115], s[12:13], v[136:137]
	;; [unrolled: 1-line block ×4, first 2 shown]
	v_add_f64 v[14:15], v[14:15], -v[10:11]
	v_add_f64 v[132:133], v[132:133], v[8:9]
	v_add_f64 v[134:135], v[134:135], v[10:11]
	v_fma_f64 v[196:197], v[118:119], s[4:5], v[196:197]
	v_fma_f64 v[34:35], v[118:119], s[12:13], v[34:35]
	v_add_f64 v[118:119], v[108:109], -v[92:93]
	v_add_f64 v[42:43], v[42:43], v[210:211]
	v_add_f64 v[18:19], v[20:21], v[18:19]
	v_add_f64 v[22:23], v[112:113], v[22:23]
	v_add_f64 v[112:113], v[102:103], -v[86:87]
	v_add_f64 v[76:77], v[216:217], v[76:77]
	v_add_f64 v[86:87], v[86:87], -v[102:103]
	v_add_f64 v[102:103], v[102:103], -v[110:111]
	v_add_f64 v[186:187], v[186:187], v[92:93]
	v_add_f64 v[190:191], v[190:191], v[94:95]
	v_add_f64 v[216:217], v[110:111], -v[94:95]
	v_add_f64 v[92:93], v[92:93], -v[108:109]
	;; [unrolled: 1-line block ×3, first 2 shown]
	v_add_f64 v[16:17], v[206:207], v[16:17]
	v_fma_f64 v[206:207], v[124:125], s[0:1], v[0:1]
	v_fma_f64 v[0:1], v[124:125], s[10:11], v[0:1]
	v_add_f64 v[78:79], v[218:219], v[78:79]
	v_fma_f64 v[136:137], v[116:117], s[12:13], v[136:137]
	v_fma_f64 v[32:33], v[116:117], s[4:5], v[32:33]
	;; [unrolled: 1-line block ×4, first 2 shown]
	v_add_f64 v[68:69], v[68:69], v[80:81]
	v_fma_f64 v[210:211], v[200:201], s[10:11], v[4:5]
	v_add_f64 v[118:119], v[198:199], v[118:119]
	v_fma_f64 v[198:199], v[116:117], s[10:11], v[138:139]
	v_fma_f64 v[138:139], v[116:117], s[0:1], v[138:139]
	;; [unrolled: 1-line block ×6, first 2 shown]
	v_add_f64 v[108:109], v[186:187], v[108:109]
	v_add_f64 v[110:111], v[190:191], v[110:111]
	;; [unrolled: 1-line block ×4, first 2 shown]
	v_fma_f64 v[202:203], v[100:101], s[0:1], v[192:193]
	v_add_f64 v[86:87], v[86:87], v[94:95]
	v_fma_f64 v[94:95], v[122:123], s[10:11], v[120:121]
	v_fma_f64 v[120:121], v[122:123], s[0:1], v[120:121]
	;; [unrolled: 1-line block ×13, first 2 shown]
	v_add_f64 v[20:21], v[28:29], v[68:69]
	v_add_f64 v[22:23], v[30:31], v[70:71]
	v_fma_f64 v[198:199], v[212:213], s[12:13], v[198:199]
	v_fma_f64 v[138:139], v[212:213], s[4:5], v[138:139]
	;; [unrolled: 1-line block ×5, first 2 shown]
	v_mul_f64 v[82:83], v[214:215], s[12:13]
	v_mul_f64 v[190:191], v[76:77], s[12:13]
	v_fma_f64 v[114:115], v[102:103], s[12:13], v[114:115]
	v_mul_f64 v[76:77], v[76:77], s[16:17]
	v_fma_f64 v[202:203], v[84:85], s[4:5], v[202:203]
	v_fma_f64 v[94:95], v[124:125], s[12:13], v[94:95]
	;; [unrolled: 1-line block ×6, first 2 shown]
	v_add_f64 v[128:129], v[90:91], v[98:99]
	v_mul_f64 v[186:187], v[34:35], s[10:11]
	v_fma_f64 v[78:79], v[184:185], s[4:5], v[78:79]
	v_fma_f64 v[184:185], v[184:185], s[12:13], v[2:3]
	;; [unrolled: 1-line block ×4, first 2 shown]
	v_mul_f64 v[34:35], v[34:35], s[18:19]
	v_add_f64 v[124:125], v[60:61], v[64:65]
	v_fma_f64 v[218:219], v[18:19], s[14:15], v[218:219]
	v_fma_f64 v[224:225], v[18:19], s[14:15], v[26:27]
	;; [unrolled: 1-line block ×7, first 2 shown]
	v_mul_f64 v[138:139], v[196:197], s[10:11]
	v_mul_f64 v[176:177], v[196:197], s[14:15]
	v_fma_f64 v[114:115], v[92:93], s[14:15], v[114:115]
	v_add_f64 v[130:131], v[62:63], v[66:67]
	v_fma_f64 v[80:81], v[112:113], s[14:15], v[202:203]
	v_fma_f64 v[94:95], v[126:127], s[14:15], v[94:95]
	;; [unrolled: 1-line block ×3, first 2 shown]
	v_add_f64 v[126:127], v[104:105], v[56:57]
	v_fma_f64 v[202:203], v[118:119], s[14:15], v[0:1]
	v_fma_f64 v[78:79], v[46:47], s[14:15], v[78:79]
	;; [unrolled: 1-line block ×5, first 2 shown]
	v_add_f64 v[2:3], v[30:31], -v[70:71]
	v_add_f64 v[30:31], v[74:75], v[54:55]
	v_add_f64 v[70:71], v[64:65], v[48:49]
	;; [unrolled: 1-line block ×3, first 2 shown]
	v_fma_f64 v[34:35], v[10:11], s[0:1], v[34:35]
	v_add_f64 v[124:125], v[124:125], v[72:73]
	v_mul_f64 v[0:1], v[198:199], s[4:5]
	v_fma_f64 v[82:83], v[198:199], s[20:21], v[82:83]
	v_fma_f64 v[136:137], v[174:175], s[14:15], v[212:213]
	;; [unrolled: 1-line block ×4, first 2 shown]
	v_add_f64 v[174:175], v[106:107], v[58:59]
	v_fma_f64 v[18:19], v[8:9], s[0:1], v[176:177]
	v_fma_f64 v[176:177], v[32:33], s[16:17], v[190:191]
	v_add_f64 v[32:33], v[64:65], -v[72:73]
	v_add_f64 v[130:131], v[130:131], v[74:75]
	v_mul_f64 v[196:197], v[80:81], s[12:13]
	v_fma_f64 v[126:127], v[126:127], -0.5, v[36:37]
	v_mul_f64 v[198:199], v[202:203], s[4:5]
	v_fma_f64 v[216:217], v[16:17], s[14:15], v[216:217]
	v_fma_f64 v[220:221], v[16:17], s[14:15], v[24:25]
	v_fma_f64 v[16:17], v[8:9], s[14:15], v[138:139]
	v_fma_f64 v[138:139], v[10:11], s[18:19], v[186:187]
	v_fma_f64 v[30:31], v[30:31], -0.5, v[62:63]
	v_fma_f64 v[212:213], v[214:215], s[20:21], v[0:1]
	v_mul_f64 v[214:215], v[116:117], s[10:11]
	v_mul_f64 v[116:117], v[116:117], s[14:15]
	v_add_f64 v[0:1], v[28:29], -v[68:69]
	v_add_f64 v[28:29], v[72:73], v[52:53]
	v_add_f64 v[68:69], v[204:205], v[208:209]
	v_add_f64 v[204:205], v[66:67], v[50:51]
	v_fma_f64 v[208:209], v[84:85], s[0:1], v[6:7]
	v_add_f64 v[24:25], v[94:95], v[82:83]
	v_add_f64 v[4:5], v[94:95], -v[82:83]
	v_add_f64 v[82:83], v[72:73], -v[64:65]
	;; [unrolled: 1-line block ×3, first 2 shown]
	v_fma_f64 v[186:187], v[202:203], s[20:21], v[196:197]
	v_add_f64 v[196:197], v[90:91], -v[106:107]
	v_add_f64 v[202:203], v[98:99], -v[58:59]
	;; [unrolled: 1-line block ×5, first 2 shown]
	v_fma_f64 v[80:81], v[80:81], s[20:21], v[198:199]
	v_add_f64 v[198:199], v[58:59], -v[98:99]
	v_add_f64 v[64:65], v[64:65], -v[48:49]
	v_add_f64 v[26:27], v[136:137], v[212:213]
	v_fma_f64 v[190:191], v[114:115], s[14:15], v[214:215]
	v_fma_f64 v[114:115], v[114:115], s[0:1], v[116:117]
	v_add_f64 v[6:7], v[136:137], -v[212:213]
	v_fma_f64 v[116:117], v[102:103], s[4:5], v[210:211]
	v_fma_f64 v[10:11], v[28:29], -0.5, v[60:61]
	v_fma_f64 v[28:29], v[70:71], -0.5, v[60:61]
	v_fma_f64 v[8:9], v[100:101], s[12:13], v[208:209]
	v_fma_f64 v[60:61], v[204:205], -0.5, v[62:63]
	v_fma_f64 v[62:63], v[128:129], -0.5, v[38:39]
	;; [unrolled: 1-line block ×4, first 2 shown]
	v_add_f64 v[36:37], v[36:37], v[104:105]
	v_fma_f64 v[100:101], v[100:101], s[10:11], v[192:193]
	v_fma_f64 v[102:103], v[102:103], s[0:1], v[194:195]
	v_add_f64 v[136:137], v[104:105], -v[88:89]
	v_add_f64 v[174:175], v[88:89], -v[96:97]
	v_add_f64 v[184:185], v[88:89], -v[104:105]
	v_add_f64 v[192:193], v[106:107], -v[90:91]
	v_add_f64 v[194:195], v[56:57], -v[96:97]
	v_add_f64 v[104:105], v[104:105], -v[56:57]
	v_add_f64 v[38:39], v[38:39], v[106:107]
	v_add_f64 v[106:107], v[106:107], -v[58:59]
	v_add_f64 v[196:197], v[196:197], v[202:203]
	v_add_f64 v[208:209], v[52:53], -v[48:49]
	v_add_f64 v[210:211], v[54:55], -v[50:51]
	;; [unrolled: 1-line block ×3, first 2 shown]
	v_add_f64 v[52:53], v[124:125], v[52:53]
	v_fma_f64 v[86:87], v[86:87], s[14:15], v[8:9]
	v_add_f64 v[8:9], v[206:207], -v[16:17]
	v_add_f64 v[36:37], v[36:37], v[88:89]
	v_fma_f64 v[84:85], v[84:85], s[12:13], v[100:101]
	v_fma_f64 v[102:103], v[200:201], s[4:5], v[102:103]
	;; [unrolled: 1-line block ×5, first 2 shown]
	v_add_f64 v[192:193], v[192:193], v[198:199]
	v_add_f64 v[136:137], v[136:137], v[194:195]
	v_add_f64 v[194:195], v[90:91], -v[98:99]
	v_fma_f64 v[198:199], v[104:105], s[0:1], v[62:63]
	v_fma_f64 v[62:63], v[104:105], s[10:11], v[62:63]
	;; [unrolled: 1-line block ×4, first 2 shown]
	v_add_f64 v[38:39], v[38:39], v[90:91]
	v_fma_f64 v[90:91], v[14:15], s[0:1], v[180:181]
	v_fma_f64 v[180:181], v[12:13], s[0:1], v[182:183]
	;; [unrolled: 1-line block ×3, first 2 shown]
	v_add_f64 v[200:201], v[50:51], -v[54:55]
	v_add_f64 v[14:15], v[78:79], v[18:19]
	v_add_f64 v[54:55], v[130:131], v[54:55]
	;; [unrolled: 1-line block ×6, first 2 shown]
	v_fma_f64 v[84:85], v[112:113], s[14:15], v[84:85]
	v_fma_f64 v[102:103], v[118:119], s[14:15], v[102:103]
	;; [unrolled: 1-line block ×5, first 2 shown]
	v_add_f64 v[128:129], v[96:97], -v[56:57]
	v_add_f64 v[96:97], v[36:37], v[96:97]
	v_add_f64 v[118:119], v[32:33], v[204:205]
	v_fma_f64 v[198:199], v[174:175], s[4:5], v[198:199]
	v_fma_f64 v[62:63], v[174:175], s[12:13], v[62:63]
	v_fma_f64 v[174:175], v[194:195], s[0:1], v[126:127]
	v_fma_f64 v[126:127], v[194:195], s[10:11], v[126:127]
	v_fma_f64 v[202:203], v[194:195], s[12:13], v[202:203]
	v_fma_f64 v[70:71], v[194:195], s[4:5], v[70:71]
	v_fma_f64 v[194:195], v[66:67], s[0:1], v[10:11]
	v_add_f64 v[98:99], v[38:39], v[98:99]
	v_fma_f64 v[90:91], v[178:179], s[4:5], v[90:91]
	v_add_f64 v[94:95], v[94:95], v[200:201]
	v_add_f64 v[32:33], v[120:121], v[176:177]
	v_add_f64 v[36:37], v[120:121], -v[176:177]
	v_mul_u32_u24_e32 v120, 10, v140
	v_add_f64 v[38:39], v[44:45], -v[76:77]
	v_fma_f64 v[100:101], v[196:197], s[14:15], v[100:101]
	v_fma_f64 v[104:105], v[196:197], s[14:15], v[104:105]
	v_add_f64 v[112:113], v[184:185], v[128:129]
	v_fma_f64 v[128:129], v[222:223], s[0:1], v[28:29]
	v_fma_f64 v[28:29], v[222:223], s[10:11], v[28:29]
	;; [unrolled: 1-line block ×12, first 2 shown]
	v_add_f64 v[10:11], v[78:79], -v[18:19]
	v_fma_f64 v[78:79], v[92:93], s[14:15], v[116:117]
	v_mul_f64 v[92:93], v[86:87], s[10:11]
	v_mul_f64 v[86:87], v[86:87], s[18:19]
	v_fma_f64 v[116:117], v[40:41], s[4:5], v[180:181]
	v_fma_f64 v[40:41], v[40:41], s[12:13], v[182:183]
	;; [unrolled: 1-line block ×3, first 2 shown]
	v_add_f64 v[18:19], v[46:47], v[34:35]
	v_mul_f64 v[192:193], v[100:101], s[10:11]
	v_mul_f64 v[100:101], v[100:101], s[14:15]
	v_fma_f64 v[124:125], v[66:67], s[12:13], v[128:129]
	v_fma_f64 v[66:67], v[66:67], s[4:5], v[28:29]
	v_mul_f64 v[128:129], v[84:85], s[12:13]
	v_mul_f64 v[84:85], v[84:85], s[16:17]
	;; [unrolled: 1-line block ×3, first 2 shown]
	v_fma_f64 v[174:175], v[112:113], s[14:15], v[174:175]
	v_fma_f64 v[126:127], v[64:65], s[4:5], v[126:127]
	;; [unrolled: 1-line block ×4, first 2 shown]
	v_mul_f64 v[112:113], v[104:105], s[10:11]
	v_mul_f64 v[178:179], v[196:197], s[4:5]
	v_fma_f64 v[180:181], v[222:223], s[12:13], v[198:199]
	v_fma_f64 v[182:183], v[72:73], s[4:5], v[202:203]
	;; [unrolled: 1-line block ×3, first 2 shown]
	v_mul_f64 v[104:105], v[104:105], s[18:19]
	v_fma_f64 v[72:73], v[72:73], s[12:13], v[30:31]
	v_mul_f64 v[136:137], v[62:63], s[12:13]
	v_mul_f64 v[62:63], v[62:63], s[16:17]
	v_fma_f64 v[92:93], v[78:79], s[18:19], v[92:93]
	v_fma_f64 v[78:79], v[78:79], s[0:1], v[86:87]
	v_add_f64 v[86:87], v[96:97], v[56:57]
	v_add_f64 v[96:97], v[98:99], v[58:59]
	v_add_f64 v[28:29], v[122:123], -v[138:139]
	v_add_f64 v[30:31], v[46:47], -v[34:35]
	v_add_f64 v[34:35], v[44:45], v[76:77]
	v_fma_f64 v[44:45], v[68:69], s[14:15], v[88:89]
	v_fma_f64 v[46:47], v[42:43], s[14:15], v[116:117]
	v_add_f64 v[76:77], v[52:53], v[48:49]
	v_add_f64 v[88:89], v[54:55], v[50:51]
	v_lshl_add_u32 v194, v120, 4, 0
	v_fma_f64 v[68:69], v[68:69], s[14:15], v[90:91]
	v_fma_f64 v[90:91], v[42:43], s[14:15], v[40:41]
	v_add_f64 v[48:49], v[216:217], v[190:191]
	v_add_f64 v[50:51], v[218:219], v[114:115]
	ds_store_b128 v194, v[20:23]
	ds_store_b128 v194, v[24:27] offset:16
	v_add_f64 v[20:21], v[132:133], v[108:109]
	v_add_f64 v[22:23], v[134:135], v[110:111]
	v_add_f64 v[24:25], v[132:133], -v[108:109]
	v_add_f64 v[26:27], v[134:135], -v[110:111]
	;; [unrolled: 1-line block ×3, first 2 shown]
	v_fma_f64 v[98:99], v[102:103], s[16:17], v[128:129]
	v_fma_f64 v[84:85], v[102:103], s[4:5], v[84:85]
	;; [unrolled: 1-line block ×18, first 2 shown]
	v_add_f64 v[56:57], v[220:221], v[92:93]
	v_add_f64 v[60:61], v[220:221], -v[92:93]
	v_add_f64 v[58:59], v[224:225], v[78:79]
	v_add_f64 v[62:63], v[224:225], -v[78:79]
	v_add_f64 v[54:55], v[218:219], -v[114:115]
	v_add_f64 v[40:41], v[44:45], v[186:187]
	v_add_f64 v[42:43], v[46:47], v[80:81]
	v_add_f64 v[44:45], v[44:45], -v[186:187]
	v_add_f64 v[46:47], v[46:47], -v[80:81]
	v_add_f64 v[72:73], v[76:77], v[86:87]
	v_add_f64 v[74:75], v[88:89], v[96:97]
	v_add_f64 v[78:79], v[88:89], -v[96:97]
	v_add_f64 v[76:77], v[76:77], -v[86:87]
	ds_store_b128 v194, v[12:15] offset:32
	ds_store_b128 v194, v[16:19] offset:48
	;; [unrolled: 1-line block ×4, first 2 shown]
	v_mul_i32_i24_e32 v0, 10, v148
	v_and_b32_e32 v184, 0xff, v146
	ds_store_b128 v194, v[4:7] offset:96
	ds_store_b128 v194, v[8:11] offset:112
	v_and_b32_e32 v185, 0xffff, v148
	v_and_b32_e32 v186, 0xffff, v172
	v_add_f64 v[64:65], v[68:69], v[98:99]
	v_add_f64 v[68:69], v[68:69], -v[98:99]
	v_add_f64 v[66:67], v[90:91], v[84:85]
	v_add_f64 v[70:71], v[90:91], -v[84:85]
	v_lshl_add_u32 v191, v0, 4, 0
	v_add_f64 v[90:91], v[124:125], v[130:131]
	v_and_b32_e32 v187, 0xffff, v166
	v_add_f64 v[92:93], v[126:127], v[112:113]
	v_add_f64 v[104:105], v[126:127], -v[112:113]
	v_and_b32_e32 v112, 0xff, v140
	v_add_f64 v[80:81], v[120:121], v[102:103]
	v_add_f64 v[84:85], v[120:121], -v[102:103]
	v_add_f64 v[106:107], v[138:139], -v[174:175]
	v_add_f64 v[88:89], v[100:101], v[128:129]
	v_add_f64 v[94:95], v[138:139], v[174:175]
	;; [unrolled: 1-line block ×5, first 2 shown]
	v_add_f64 v[108:109], v[118:119], -v[136:137]
	v_add_f64 v[110:111], v[176:177], -v[178:179]
	;; [unrolled: 1-line block ×5, first 2 shown]
	v_mul_lo_u16 v12, 0xcd, v112
	v_mul_i32_i24_e32 v113, 10, v146
	v_lshl_add_u32 v193, v170, 4, 0
	v_lshl_add_u32 v190, v160, 4, 0
	s_mov_b32 s10, 0xe8584caa
	v_lshrrev_b16 v205, 11, v12
	v_lshl_add_u32 v192, v113, 4, 0
	ds_store_b128 v194, v[28:31] offset:128
	ds_store_b128 v194, v[36:39] offset:144
	ds_store_b128 v192, v[20:23]
	ds_store_b128 v192, v[40:43] offset:16
	v_mul_lo_u16 v1, v205, 10
	ds_store_b128 v192, v[48:51] offset:32
	ds_store_b128 v192, v[56:59] offset:48
	;; [unrolled: 1-line block ×4, first 2 shown]
	v_sub_nc_u16 v0, v140, v1
	ds_store_b128 v192, v[44:47] offset:96
	ds_store_b128 v192, v[52:55] offset:112
	;; [unrolled: 1-line block ×4, first 2 shown]
	ds_store_b128 v191, v[72:75]
	ds_store_b128 v191, v[80:83] offset:16
	ds_store_b128 v191, v[88:91] offset:32
	;; [unrolled: 1-line block ×3, first 2 shown]
	v_and_b32_e32 v196, 0xff, v0
	ds_store_b128 v191, v[96:99] offset:64
	ds_store_b128 v191, v[76:79] offset:80
	;; [unrolled: 1-line block ×6, first 2 shown]
	s_waitcnt lgkmcnt(0)
	v_mul_u32_u24_e32 v0, 5, v196
	s_barrier
	buffer_gl0_inv
	v_mul_lo_u16 v1, 0xcd, v184
	s_mov_b32 s11, 0xbfebb67a
	v_lshlrev_b32_e32 v0, 4, v0
	s_mov_b32 s5, 0x3febb67a
	s_mov_b32 s4, s10
	v_lshrrev_b16 v204, 11, v1
	v_cmp_gt_u32_e64 s0, 60, v140
	s_clause 0x3
	global_load_b128 v[40:43], v0, s[8:9]
	global_load_b128 v[56:59], v0, s[8:9] offset:16
	global_load_b128 v[44:47], v0, s[8:9] offset:32
	;; [unrolled: 1-line block ×3, first 2 shown]
	v_mul_lo_u16 v1, v204, 10
	global_load_b128 v[52:55], v0, s[8:9] offset:64
	s_add_u32 s1, s8, 0xb360
	v_sub_nc_u16 v1, v146, v1
	s_delay_alu instid0(VALU_DEP_1) | instskip(SKIP_1) | instid1(VALU_DEP_2)
	v_and_b32_e32 v197, 0xff, v1
	v_mul_u32_u24_e32 v1, 0xcccd, v185
	v_mul_u32_u24_e32 v0, 5, v197
	s_delay_alu instid0(VALU_DEP_2) | instskip(NEXT) | instid1(VALU_DEP_2)
	v_lshrrev_b32_e32 v200, 19, v1
	v_lshlrev_b32_e32 v0, 4, v0
	s_clause 0x3
	global_load_b128 v[64:67], v0, s[8:9]
	global_load_b128 v[60:63], v0, s[8:9] offset:16
	global_load_b128 v[84:87], v0, s[8:9] offset:32
	;; [unrolled: 1-line block ×3, first 2 shown]
	v_mul_lo_u16 v1, v200, 10
	global_load_b128 v[102:105], v0, s[8:9] offset:64
	v_sub_nc_u16 v1, v148, v1
	s_delay_alu instid0(VALU_DEP_1) | instskip(NEXT) | instid1(VALU_DEP_1)
	v_and_b32_e32 v201, 0xffff, v1
	v_mul_u32_u24_e32 v1, 5, v201
	s_delay_alu instid0(VALU_DEP_1)
	v_lshlrev_b32_e32 v0, 4, v1
	s_clause 0x1
	global_load_b128 v[116:119], v0, s[8:9]
	global_load_b128 v[122:125], v0, s[8:9] offset:16
	v_mul_u32_u24_e32 v1, 0xcccd, v186
	s_clause 0x2
	global_load_b128 v[128:131], v0, s[8:9] offset:32
	global_load_b128 v[132:135], v0, s[8:9] offset:48
	;; [unrolled: 1-line block ×3, first 2 shown]
	v_lshrrev_b32_e32 v202, 19, v1
	s_delay_alu instid0(VALU_DEP_1) | instskip(NEXT) | instid1(VALU_DEP_1)
	v_mul_lo_u16 v1, v202, 10
	v_sub_nc_u16 v1, v172, v1
	s_delay_alu instid0(VALU_DEP_1) | instskip(SKIP_1) | instid1(VALU_DEP_2)
	v_and_b32_e32 v203, 0xffff, v1
	v_mul_u32_u24_e32 v1, 0xcccd, v187
	v_mul_u32_u24_e32 v0, 5, v203
	s_delay_alu instid0(VALU_DEP_2) | instskip(NEXT) | instid1(VALU_DEP_2)
	v_lshrrev_b32_e32 v198, 19, v1
	v_lshlrev_b32_e32 v0, 4, v0
	s_delay_alu instid0(VALU_DEP_2)
	v_mul_lo_u16 v1, v198, 10
	s_clause 0x3
	global_load_b128 v[174:177], v0, s[8:9]
	global_load_b128 v[206:209], v0, s[8:9] offset:16
	global_load_b128 v[28:31], v0, s[8:9] offset:32
	;; [unrolled: 1-line block ×3, first 2 shown]
	v_sub_nc_u16 v1, v166, v1
	s_delay_alu instid0(VALU_DEP_1) | instskip(NEXT) | instid1(VALU_DEP_1)
	v_and_b32_e32 v199, 0xffff, v1
	v_mul_u32_u24_e32 v1, 5, v199
	s_delay_alu instid0(VALU_DEP_1)
	v_lshlrev_b32_e32 v24, 4, v1
	s_clause 0x5
	global_load_b128 v[0:3], v0, s[8:9] offset:64
	global_load_b128 v[8:11], v24, s[8:9]
	global_load_b128 v[16:19], v24, s[8:9] offset:16
	global_load_b128 v[12:15], v24, s[8:9] offset:32
	;; [unrolled: 1-line block ×4, first 2 shown]
	ds_load_b128 v[68:71], v193
	ds_load_b128 v[72:75], v190
	ds_load_b128 v[80:83], v188 offset:23040
	ds_load_b128 v[92:95], v188 offset:30720
	;; [unrolled: 1-line block ×11, first 2 shown]
	s_waitcnt vmcnt(24) lgkmcnt(12)
	v_mul_f64 v[76:77], v[70:71], v[42:43]
	v_mul_f64 v[42:43], v[68:69], v[42:43]
	s_waitcnt vmcnt(23) lgkmcnt(11)
	v_mul_f64 v[96:97], v[74:75], v[58:59]
	v_mul_f64 v[58:59], v[72:73], v[58:59]
	;; [unrolled: 3-line block ×5, first 2 shown]
	v_fma_f64 v[68:69], v[68:69], v[40:41], v[76:77]
	v_fma_f64 v[78:79], v[70:71], v[40:41], -v[42:43]
	s_waitcnt vmcnt(19) lgkmcnt(5)
	v_mul_f64 v[70:71], v[212:213], v[66:67]
	v_fma_f64 v[100:101], v[72:73], v[56:57], v[96:97]
	v_fma_f64 v[98:99], v[74:75], v[56:57], -v[58:59]
	v_mul_f64 v[56:57], v[210:211], v[66:67]
	s_waitcnt vmcnt(17) lgkmcnt(3)
	v_mul_f64 v[66:67], v[220:221], v[86:87]
	v_mul_f64 v[58:59], v[216:217], v[62:63]
	;; [unrolled: 1-line block ×3, first 2 shown]
	ds_load_b128 v[40:43], v188
	v_fma_f64 v[108:109], v[80:81], v[44:45], v[106:107]
	v_fma_f64 v[106:107], v[82:83], v[44:45], -v[46:47]
	v_fma_f64 v[80:81], v[92:93], v[48:49], v[114:115]
	v_fma_f64 v[74:75], v[94:95], v[48:49], -v[50:51]
	v_mul_f64 v[72:73], v[218:219], v[86:87]
	ds_load_b128 v[48:51], v188 offset:39936
	v_fma_f64 v[82:83], v[110:111], v[52:53], v[120:121]
	v_fma_f64 v[76:77], v[112:113], v[52:53], -v[54:55]
	ds_load_b128 v[52:55], v188 offset:10752
	s_waitcnt vmcnt(16)
	v_mul_f64 v[86:87], v[180:181], v[90:91]
	v_mul_f64 v[90:91], v[178:179], v[90:91]
	ds_load_b128 v[44:47], v188 offset:13824
	s_waitcnt vmcnt(14) lgkmcnt(1)
	v_mul_f64 v[96:97], v[54:55], v[118:119]
	v_fma_f64 v[70:71], v[210:211], v[64:65], v[70:71]
	v_fma_f64 v[94:95], v[212:213], v[64:65], -v[56:57]
	ds_load_b128 v[210:213], v188 offset:41472
	v_mul_f64 v[56:57], v[50:51], v[104:105]
	v_mul_f64 v[64:65], v[48:49], v[104:105]
	v_fma_f64 v[120:121], v[218:219], v[84:85], v[66:67]
	v_mul_f64 v[66:67], v[52:53], v[118:119]
	v_fma_f64 v[112:113], v[214:215], v[60:61], v[58:59]
	v_fma_f64 v[114:115], v[216:217], v[60:61], -v[62:63]
	ds_load_b128 v[214:217], v188 offset:12288
	ds_load_b128 v[60:63], v188 offset:18432
	v_fma_f64 v[110:111], v[220:221], v[84:85], -v[72:73]
	ds_load_b128 v[218:221], v188 offset:33792
	s_waitcnt vmcnt(8)
	v_mul_f64 v[230:231], v[228:229], v[208:209]
	v_fma_f64 v[86:87], v[178:179], v[88:89], v[86:87]
	v_fma_f64 v[90:91], v[180:181], v[88:89], -v[90:91]
	v_mul_f64 v[208:209], v[226:227], v[208:209]
	s_waitcnt lgkmcnt(2)
	v_mul_f64 v[194:195], v[214:215], v[176:177]
	s_waitcnt lgkmcnt(1)
	v_mul_f64 v[84:85], v[62:63], v[124:125]
	v_mul_f64 v[104:105], v[60:61], v[124:125]
	v_fma_f64 v[72:73], v[52:53], v[116:117], v[96:97]
	v_fma_f64 v[92:93], v[48:49], v[102:103], v[56:57]
	ds_load_b128 v[56:59], v188 offset:35328
	v_fma_f64 v[88:89], v[50:51], v[102:103], -v[64:65]
	s_waitcnt lgkmcnt(1)
	v_mul_f64 v[50:51], v[220:221], v[134:135]
	v_fma_f64 v[102:103], v[54:55], v[116:117], -v[66:67]
	v_mul_f64 v[52:53], v[218:219], v[134:135]
	ds_load_b128 v[64:67], v188 offset:27648
	v_mul_f64 v[48:49], v[222:223], v[130:131]
	v_mul_f64 v[118:119], v[224:225], v[130:131]
	;; [unrolled: 1-line block ×5, first 2 shown]
	s_waitcnt vmcnt(6) lgkmcnt(1)
	v_mul_f64 v[176:177], v[58:59], v[6:7]
	v_mul_f64 v[178:179], v[56:57], v[6:7]
	s_waitcnt lgkmcnt(0)
	v_mul_f64 v[180:181], v[66:67], v[30:31]
	v_fma_f64 v[116:117], v[60:61], v[122:123], v[84:85]
	v_fma_f64 v[124:125], v[62:63], v[122:123], -v[104:105]
	ds_load_b128 v[60:63], v188 offset:43008
	v_mul_f64 v[182:183], v[64:65], v[30:31]
	v_fma_f64 v[84:85], v[218:219], v[132:133], v[50:51]
	v_fma_f64 v[96:97], v[220:221], v[132:133], -v[52:53]
	ds_load_b128 v[52:55], v188 offset:29184
	v_fma_f64 v[122:123], v[224:225], v[128:129], -v[48:49]
	ds_load_b128 v[48:51], v188 offset:44544
	v_fma_f64 v[126:127], v[222:223], v[128:129], v[118:119]
	v_fma_f64 v[104:105], v[210:211], v[136:137], v[130:131]
	v_fma_f64 v[30:31], v[212:213], v[136:137], -v[134:135]
	s_waitcnt vmcnt(5) lgkmcnt(2)
	v_mul_f64 v[128:129], v[62:63], v[2:3]
	v_mul_f64 v[136:137], v[60:61], v[2:3]
	v_fma_f64 v[6:7], v[214:215], v[174:175], v[138:139]
	v_fma_f64 v[118:119], v[216:217], v[174:175], -v[194:195]
	s_waitcnt vmcnt(4)
	v_mul_f64 v[130:131], v[46:47], v[10:11]
	s_waitcnt vmcnt(3)
	v_mul_f64 v[134:135], v[38:39], v[18:19]
	v_mul_f64 v[138:139], v[36:37], v[18:19]
	;; [unrolled: 1-line block ×3, first 2 shown]
	v_fma_f64 v[2:3], v[226:227], v[206:207], v[230:231]
	v_fma_f64 v[10:11], v[228:229], v[206:207], -v[208:209]
	v_add_f64 v[206:207], v[106:107], v[76:77]
	v_fma_f64 v[176:177], v[56:57], v[4:5], v[176:177]
	v_fma_f64 v[4:5], v[58:59], v[4:5], -v[178:179]
	v_lshl_add_u32 v194, v172, 4, 0
	s_waitcnt vmcnt(2) lgkmcnt(1)
	v_mul_f64 v[174:175], v[52:53], v[14:15]
	v_fma_f64 v[64:65], v[64:65], v[28:29], v[180:181]
	s_waitcnt vmcnt(1) lgkmcnt(0)
	v_mul_f64 v[18:19], v[48:49], v[22:23]
	v_mul_f64 v[180:181], v[54:55], v[14:15]
	v_fma_f64 v[66:67], v[66:67], v[28:29], -v[182:183]
	v_mul_f64 v[22:23], v[50:51], v[22:23]
	s_waitcnt vmcnt(0)
	v_mul_f64 v[182:183], v[34:35], v[26:27]
	v_and_b32_e32 v14, 0xffff, v205
	v_and_b32_e32 v15, 0xffff, v204
	v_mul_f64 v[204:205], v[32:33], v[26:27]
	v_lshlrev_b32_e32 v26, 4, v196
	v_lshlrev_b32_e32 v27, 4, v197
	v_mul_u32_u24_e32 v14, 0x3c0, v14
	v_mul_u32_u24_e32 v15, 0x3c0, v15
	v_mad_i32_i24 v197, 0xffffff70, v146, v192
	v_mad_i32_i24 v196, 0xffffff70, v148, v191
	v_lshl_add_u32 v195, v166, 4, 0
	v_add3_u32 v218, 0, v14, v26
	v_add3_u32 v219, 0, v15, v27
	ds_load_b128 v[26:29], v197
	ds_load_b128 v[56:59], v196
	v_add_f64 v[212:213], v[72:73], v[126:127]
	v_add_f64 v[208:209], v[122:123], v[30:31]
	v_fma_f64 v[60:61], v[60:61], v[0:1], v[128:129]
	v_fma_f64 v[0:1], v[62:63], v[0:1], -v[136:137]
	v_add_f64 v[128:129], v[100:101], v[80:81]
	v_add_f64 v[136:137], v[108:109], -v[82:83]
	v_fma_f64 v[44:45], v[44:45], v[8:9], v[130:131]
	v_add_f64 v[130:131], v[98:99], v[74:75]
	v_fma_f64 v[62:63], v[38:39], v[16:17], -v[138:139]
	v_fma_f64 v[8:9], v[46:47], v[8:9], -v[132:133]
	v_fma_f64 v[46:47], v[36:37], v[16:17], v[134:135]
	v_add_f64 v[134:135], v[108:109], v[82:83]
	v_add_f64 v[138:139], v[116:117], v[84:85]
	v_fma_f64 v[178:179], v[206:207], -0.5, v[78:79]
	v_add_f64 v[132:133], v[114:115], v[90:91]
	v_add_f64 v[78:79], v[78:79], v[106:107]
	v_fma_f64 v[54:55], v[54:55], v[12:13], -v[174:175]
	v_add_f64 v[174:175], v[124:125], v[96:97]
	v_fma_f64 v[18:19], v[50:51], v[20:21], -v[18:19]
	v_fma_f64 v[12:13], v[52:53], v[12:13], v[180:181]
	v_add_f64 v[52:53], v[110:111], v[88:89]
	v_add_f64 v[50:51], v[112:113], v[86:87]
	v_fma_f64 v[20:21], v[48:49], v[20:21], v[22:23]
	v_add_f64 v[22:23], v[40:41], v[100:101]
	v_add_f64 v[48:49], v[68:69], v[108:109]
	v_fma_f64 v[32:33], v[32:33], v[24:25], v[182:183]
	v_fma_f64 v[24:25], v[34:35], v[24:25], -v[204:205]
	v_add_f64 v[34:35], v[42:43], v[98:99]
	s_waitcnt lgkmcnt(1)
	v_add_f64 v[108:109], v[28:29], v[114:115]
	v_add_f64 v[182:183], v[26:27], v[112:113]
	;; [unrolled: 1-line block ×5, first 2 shown]
	v_add_f64 v[120:121], v[120:121], -v[92:93]
	v_add_f64 v[106:107], v[106:107], -v[76:77]
	s_waitcnt lgkmcnt(0)
	v_add_f64 v[210:211], v[58:59], v[124:125]
	ds_load_b128 v[14:17], v194
	ds_load_b128 v[36:39], v195
	v_add_f64 v[100:101], v[100:101], -v[80:81]
	v_add_f64 v[114:115], v[114:115], -v[90:91]
	;; [unrolled: 1-line block ×5, first 2 shown]
	v_fma_f64 v[40:41], v[128:129], -0.5, v[40:41]
	v_add_f64 v[128:129], v[66:67], v[0:1]
	v_add_f64 v[98:99], v[98:99], -v[74:75]
	v_fma_f64 v[42:43], v[130:131], -0.5, v[42:43]
	v_add_f64 v[214:215], v[10:11], -v[4:5]
	v_add_f64 v[124:125], v[124:125], -v[96:97]
	s_waitcnt lgkmcnt(0)
	v_fma_f64 v[68:69], v[134:135], -0.5, v[68:69]
	v_add_f64 v[134:135], v[126:127], v[104:105]
	v_add_f64 v[126:127], v[126:127], -v[104:105]
	v_fma_f64 v[28:29], v[132:133], -0.5, v[28:29]
	v_add_f64 v[132:133], v[102:103], v[122:123]
	v_add_f64 v[76:77], v[78:79], v[76:77]
	v_fma_f64 v[58:59], v[174:175], -0.5, v[58:59]
	v_add_f64 v[130:131], v[54:55], v[18:19]
	v_add_f64 v[174:175], v[10:11], v[4:5]
	v_fma_f64 v[52:53], v[52:53], -0.5, v[94:95]
	v_fma_f64 v[26:27], v[50:51], -0.5, v[26:27]
	v_add_f64 v[50:51], v[56:57], v[116:117]
	v_fma_f64 v[56:57], v[138:139], -0.5, v[56:57]
	v_fma_f64 v[138:139], v[136:137], s[4:5], v[178:179]
	v_fma_f64 v[136:137], v[136:137], s[10:11], v[178:179]
	v_add_f64 v[94:95], v[2:3], v[176:177]
	v_add_f64 v[178:179], v[6:7], v[64:65]
	;; [unrolled: 1-line block ×5, first 2 shown]
	v_fma_f64 v[102:103], v[208:209], -0.5, v[102:103]
	v_add_f64 v[64:65], v[64:65], -v[60:61]
	v_add_f64 v[22:23], v[22:23], v[80:81]
	v_add_f64 v[80:81], v[14:15], v[2:3]
	v_add_f64 v[90:91], v[108:109], v[90:91]
	v_add_f64 v[108:109], v[46:47], v[32:33]
	v_add_f64 v[86:87], v[182:183], v[86:87]
	v_add_f64 v[182:183], v[38:39], v[62:63]
	v_add_f64 v[88:89], v[204:205], v[88:89]
	v_add_f64 v[204:205], v[12:13], v[20:21]
	v_add_f64 v[2:3], v[12:13], -v[20:21]
	v_add_f64 v[34:35], v[34:35], v[74:75]
	v_fma_f64 v[118:119], v[128:129], -0.5, v[118:119]
	v_add_f64 v[128:129], v[44:45], v[12:13]
	v_add_f64 v[74:75], v[16:17], v[10:11]
	v_fma_f64 v[10:11], v[206:207], -0.5, v[70:71]
	v_add_f64 v[92:93], v[180:181], v[92:93]
	v_add_f64 v[180:181], v[36:37], v[46:47]
	;; [unrolled: 1-line block ×4, first 2 shown]
	v_fma_f64 v[104:105], v[106:107], s[10:11], v[68:69]
	v_fma_f64 v[68:69], v[106:107], s[4:5], v[68:69]
	v_add_f64 v[116:117], v[116:117], -v[84:85]
	v_add_f64 v[122:123], v[122:123], -v[30:31]
	;; [unrolled: 1-line block ×3, first 2 shown]
	v_fma_f64 v[130:131], v[130:131], -0.5, v[8:9]
	v_add_f64 v[8:9], v[8:9], v[54:55]
	v_fma_f64 v[12:13], v[120:121], s[4:5], v[52:53]
	v_fma_f64 v[52:53], v[120:121], s[10:11], v[52:53]
	v_add_f64 v[50:51], v[50:51], v[84:85]
	v_add_f64 v[84:85], v[132:133], v[30:31]
	v_mul_f64 v[206:207], v[138:139], s[10:11]
	v_mul_f64 v[106:107], v[136:137], s[10:11]
	v_mul_f64 v[136:137], v[136:137], -0.5
	v_mul_f64 v[138:139], v[138:139], 0.5
	v_fma_f64 v[30:31], v[134:135], -0.5, v[72:73]
	v_fma_f64 v[72:73], v[94:95], -0.5, v[14:15]
	v_fma_f64 v[94:95], v[174:175], -0.5, v[16:17]
	v_fma_f64 v[14:15], v[126:127], s[4:5], v[102:103]
	v_fma_f64 v[16:17], v[126:127], s[10:11], v[102:103]
	v_fma_f64 v[78:79], v[78:79], -0.5, v[6:7]
	v_add_f64 v[54:55], v[54:55], -v[18:19]
	v_add_f64 v[208:209], v[62:63], v[24:25]
	v_add_f64 v[62:63], v[62:63], -v[24:25]
	v_fma_f64 v[36:37], v[108:109], -0.5, v[36:37]
	v_add_f64 v[108:109], v[182:183], v[24:25]
	v_add_f64 v[46:47], v[46:47], -v[32:33]
	v_fma_f64 v[24:25], v[204:205], -0.5, v[44:45]
	v_add_f64 v[60:61], v[178:179], v[60:61]
	v_add_f64 v[6:7], v[34:35], -v[76:77]
	v_add_f64 v[80:81], v[80:81], v[176:177]
	v_add_f64 v[120:121], v[128:129], v[20:21]
	v_fma_f64 v[20:21], v[64:65], s[10:11], v[118:119]
	v_fma_f64 v[128:129], v[110:111], s[10:11], v[10:11]
	v_add_f64 v[74:75], v[74:75], v[4:5]
	v_add_f64 v[102:103], v[180:181], v[32:33]
	v_fma_f64 v[32:33], v[98:99], s[10:11], v[40:41]
	v_fma_f64 v[40:41], v[98:99], s[4:5], v[40:41]
	v_add_f64 v[82:83], v[82:83], v[0:1]
	v_add_f64 v[0:1], v[22:23], v[48:49]
	v_add_f64 v[4:5], v[22:23], -v[48:49]
	v_fma_f64 v[48:49], v[114:115], s[10:11], v[26:27]
	v_fma_f64 v[114:115], v[114:115], s[4:5], v[26:27]
	;; [unrolled: 1-line block ×3, first 2 shown]
	v_add_f64 v[126:127], v[8:9], v[18:19]
	v_fma_f64 v[18:19], v[64:65], s[4:5], v[118:119]
	v_fma_f64 v[118:119], v[2:3], s[10:11], v[130:131]
	v_mul_f64 v[130:131], v[12:13], s[10:11]
	v_mul_f64 v[12:13], v[12:13], 0.5
	v_fma_f64 v[64:65], v[100:101], s[4:5], v[42:43]
	v_fma_f64 v[42:43], v[100:101], s[10:11], v[42:43]
	v_fma_f64 v[98:99], v[68:69], -0.5, v[106:107]
	v_fma_f64 v[68:69], v[68:69], s[4:5], v[136:137]
	v_fma_f64 v[100:101], v[110:111], s[4:5], v[10:11]
	v_mul_f64 v[106:107], v[52:53], s[10:11]
	v_mul_f64 v[52:53], v[52:53], -0.5
	v_fma_f64 v[132:133], v[104:105], 0.5, v[206:207]
	v_fma_f64 v[104:105], v[104:105], s[4:5], v[138:139]
	v_add_f64 v[2:3], v[34:35], v[76:77]
	v_fma_f64 v[34:35], v[122:123], s[10:11], v[30:31]
	v_mul_f64 v[76:77], v[14:15], s[10:11]
	v_mul_f64 v[110:111], v[14:15], 0.5
	v_fma_f64 v[122:123], v[122:123], s[4:5], v[30:31]
	v_mul_f64 v[134:135], v[16:17], s[10:11]
	v_mul_f64 v[136:137], v[16:17], -0.5
	v_fma_f64 v[174:175], v[66:67], s[10:11], v[78:79]
	v_fma_f64 v[66:67], v[66:67], s[4:5], v[78:79]
	v_fma_f64 v[38:39], v[208:209], -0.5, v[38:39]
	v_fma_f64 v[78:79], v[54:55], s[10:11], v[24:25]
	v_fma_f64 v[138:139], v[112:113], s[4:5], v[28:29]
	v_mul_f64 v[180:181], v[20:21], s[10:11]
	v_mul_f64 v[182:183], v[20:21], -0.5
	v_fma_f64 v[54:55], v[54:55], s[4:5], v[24:25]
	v_fma_f64 v[112:113], v[112:113], s[10:11], v[28:29]
	v_add_f64 v[8:9], v[86:87], v[92:93]
	v_add_f64 v[10:11], v[90:91], v[88:89]
	v_add_f64 v[28:29], v[86:87], -v[92:93]
	v_add_f64 v[30:31], v[90:91], -v[88:89]
	v_fma_f64 v[86:87], v[214:215], s[10:11], v[72:73]
	v_fma_f64 v[72:73], v[214:215], s[4:5], v[72:73]
	;; [unrolled: 1-line block ×3, first 2 shown]
	v_mul_f64 v[204:205], v[44:45], s[10:11]
	v_mul_f64 v[44:45], v[44:45], 0.5
	v_mul_f64 v[176:177], v[18:19], s[10:11]
	v_mul_f64 v[178:179], v[18:19], 0.5
	v_mul_f64 v[206:207], v[118:119], s[10:11]
	v_mul_f64 v[118:119], v[118:119], -0.5
	v_fma_f64 v[130:131], v[128:129], 0.5, v[130:131]
	v_fma_f64 v[128:129], v[128:129], s[4:5], v[12:13]
	v_add_f64 v[20:21], v[40:41], v[98:99]
	v_add_f64 v[22:23], v[42:43], v[68:69]
	v_add_f64 v[24:25], v[40:41], -v[98:99]
	v_add_f64 v[26:27], v[42:43], -v[68:69]
	v_fma_f64 v[40:41], v[100:101], -0.5, v[106:107]
	v_fma_f64 v[42:43], v[100:101], s[4:5], v[52:53]
	v_add_f64 v[12:13], v[32:33], v[132:133]
	v_add_f64 v[14:15], v[64:65], v[104:105]
	v_add_f64 v[16:17], v[32:33], -v[132:133]
	v_add_f64 v[18:19], v[64:65], -v[104:105]
	v_fma_f64 v[52:53], v[124:125], s[10:11], v[56:57]
	v_fma_f64 v[64:65], v[116:117], s[4:5], v[58:59]
	v_fma_f64 v[58:59], v[116:117], s[10:11], v[58:59]
	v_fma_f64 v[68:69], v[34:35], 0.5, v[76:77]
	v_fma_f64 v[76:77], v[34:35], s[4:5], v[110:111]
	v_fma_f64 v[88:89], v[122:123], -0.5, v[134:135]
	v_fma_f64 v[90:91], v[122:123], s[4:5], v[136:137]
	v_fma_f64 v[94:95], v[216:217], s[10:11], v[94:95]
	;; [unrolled: 1-line block ×3, first 2 shown]
	v_fma_f64 v[116:117], v[66:67], -0.5, v[180:181]
	v_fma_f64 v[122:123], v[66:67], s[4:5], v[182:183]
	v_fma_f64 v[98:99], v[62:63], s[10:11], v[36:37]
	;; [unrolled: 1-line block ×5, first 2 shown]
	s_barrier
	buffer_gl0_inv
	ds_store_b128 v218, v[0:3]
	ds_store_b128 v218, v[12:15] offset:160
	ds_store_b128 v218, v[4:7] offset:480
	ds_store_b128 v218, v[20:23] offset:320
	ds_store_b128 v218, v[16:19] offset:640
	ds_store_b128 v218, v[24:27] offset:800
	v_fma_f64 v[62:63], v[174:175], 0.5, v[176:177]
	v_fma_f64 v[110:111], v[174:175], s[4:5], v[178:179]
	v_fma_f64 v[124:125], v[78:79], 0.5, v[204:205]
	v_fma_f64 v[132:133], v[78:79], s[4:5], v[44:45]
	v_fma_f64 v[134:135], v[54:55], -0.5, v[206:207]
	v_fma_f64 v[118:119], v[54:55], s[4:5], v[118:119]
	v_add_f64 v[32:33], v[48:49], v[130:131]
	v_add_f64 v[34:35], v[138:139], v[128:129]
	;; [unrolled: 1-line block ×4, first 2 shown]
	v_add_f64 v[36:37], v[48:49], -v[130:131]
	v_add_f64 v[38:39], v[138:139], -v[128:129]
	;; [unrolled: 1-line block ×4, first 2 shown]
	v_add_f64 v[12:13], v[50:51], v[96:97]
	v_add_f64 v[14:15], v[70:71], v[84:85]
	;; [unrolled: 1-line block ×3, first 2 shown]
	v_add_f64 v[24:25], v[52:53], -v[68:69]
	v_add_f64 v[26:27], v[64:65], -v[76:77]
	v_add_f64 v[64:65], v[72:73], v[116:117]
	v_add_f64 v[66:67], v[94:95], v[122:123]
	;; [unrolled: 1-line block ×3, first 2 shown]
	v_add_f64 v[44:45], v[56:57], -v[88:89]
	v_add_f64 v[46:47], v[58:59], -v[90:91]
	;; [unrolled: 1-line block ×5, first 2 shown]
	v_add_f64 v[40:41], v[56:57], v[88:89]
	v_add_f64 v[42:43], v[58:59], v[90:91]
	;; [unrolled: 1-line block ×4, first 2 shown]
	v_add_f64 v[18:19], v[70:71], -v[84:85]
	v_add_f64 v[68:69], v[72:73], -v[116:117]
	;; [unrolled: 1-line block ×3, first 2 shown]
	v_add_f64 v[72:73], v[102:103], v[120:121]
	v_add_f64 v[74:75], v[108:109], v[126:127]
	ds_store_b128 v219, v[8:11]
	ds_store_b128 v219, v[32:35] offset:160
	v_add_f64 v[56:57], v[86:87], v[62:63]
	v_add_f64 v[60:61], v[86:87], -v[62:63]
	v_add_f64 v[62:63], v[92:93], -v[110:111]
	v_add_f64 v[58:59], v[92:93], v[110:111]
	v_add_f64 v[8:9], v[98:99], -v[124:125]
	v_add_f64 v[10:11], v[104:105], -v[132:133]
	v_add_f64 v[80:81], v[98:99], v[124:125]
	v_add_f64 v[82:83], v[104:105], v[132:133]
	v_add_f64 v[32:33], v[100:101], -v[134:135]
	v_add_f64 v[34:35], v[106:107], -v[118:119]
	v_add_f64 v[84:85], v[100:101], v[134:135]
	v_add_f64 v[86:87], v[106:107], v[118:119]
	v_add_f64 v[76:77], v[102:103], -v[120:121]
	v_add_f64 v[78:79], v[108:109], -v[126:127]
	ds_store_b128 v219, v[0:3] offset:320
	ds_store_b128 v219, v[28:31] offset:480
	;; [unrolled: 1-line block ×4, first 2 shown]
	v_subrev_nc_u32_e32 v2, 60, v140
	v_mul_u32_u24_e32 v88, 0x3c0, v200
	v_lshlrev_b32_e32 v89, 4, v201
	v_mul_u32_u24_e32 v0, 0x3c0, v202
	v_lshlrev_b32_e32 v1, 4, v203
	v_cndmask_b32_e64 v200, v2, v140, s0
	v_lshlrev_b32_e32 v3, 4, v199
	v_add3_u32 v88, 0, v88, v89
	v_mov_b32_e32 v175, 0
	v_add3_u32 v0, 0, v0, v1
	v_mul_u32_u24_e32 v1, 0x3c0, v198
	v_mul_i32_i24_e32 v174, 5, v200
	ds_store_b128 v88, v[12:15]
	ds_store_b128 v88, v[20:23] offset:160
	ds_store_b128 v88, v[40:43] offset:320
	ds_store_b128 v88, v[16:19] offset:480
	ds_store_b128 v88, v[24:27] offset:640
	ds_store_b128 v88, v[44:47] offset:800
	ds_store_b128 v0, v[48:51]
	ds_store_b128 v0, v[56:59] offset:160
	v_add3_u32 v2, 0, v1, v3
	ds_store_b128 v0, v[64:67] offset:320
	ds_store_b128 v0, v[52:55] offset:480
	;; [unrolled: 1-line block ×4, first 2 shown]
	v_lshlrev_b64 v[0:1], 4, v[174:175]
	ds_store_b128 v2, v[72:75]
	ds_store_b128 v2, v[80:83] offset:160
	ds_store_b128 v2, v[84:87] offset:320
	;; [unrolled: 1-line block ×3, first 2 shown]
	v_add_co_u32 v0, s0, s8, v0
	s_delay_alu instid0(VALU_DEP_1)
	v_add_co_ci_u32_e64 v1, s0, s9, v1, s0
	ds_store_b128 v2, v[8:11] offset:640
	ds_store_b128 v2, v[32:35] offset:800
	s_waitcnt lgkmcnt(0)
	s_barrier
	buffer_gl0_inv
	s_clause 0x1
	global_load_b128 v[44:47], v[0:1], off offset:800
	global_load_b128 v[48:51], v[0:1], off offset:816
	v_mul_lo_u16 v2, 0x89, v184
	s_clause 0x2
	global_load_b128 v[60:63], v[0:1], off offset:832
	global_load_b128 v[52:55], v[0:1], off offset:848
	global_load_b128 v[56:59], v[0:1], off offset:864
	v_mul_u32_u24_e32 v1, 0x8889, v185
	v_lshrrev_b16 v199, 13, v2
	v_cmp_lt_u32_e64 s0, 59, v140
	s_delay_alu instid0(VALU_DEP_3) | instskip(NEXT) | instid1(VALU_DEP_3)
	v_lshrrev_b32_e32 v205, 21, v1
	v_mul_lo_u16 v2, v199, 60
	s_delay_alu instid0(VALU_DEP_2) | instskip(NEXT) | instid1(VALU_DEP_2)
	v_mul_lo_u16 v1, v205, 60
	v_sub_nc_u16 v2, v146, v2
	v_mul_u32_u24_e32 v205, 0x1680, v205
	s_delay_alu instid0(VALU_DEP_3) | instskip(NEXT) | instid1(VALU_DEP_3)
	v_sub_nc_u16 v1, v148, v1
	v_and_b32_e32 v198, 0xff, v2
	s_delay_alu instid0(VALU_DEP_2) | instskip(NEXT) | instid1(VALU_DEP_2)
	v_and_b32_e32 v202, 0xffff, v1
	v_mul_u32_u24_e32 v0, 5, v198
	v_mul_u32_u24_e32 v1, 0x8889, v186
	s_delay_alu instid0(VALU_DEP_2)
	v_lshlrev_b32_e32 v0, 4, v0
	s_clause 0x4
	global_load_b128 v[64:67], v0, s[8:9] offset:800
	global_load_b128 v[68:71], v0, s[8:9] offset:816
	global_load_b128 v[72:75], v0, s[8:9] offset:832
	global_load_b128 v[88:91], v0, s[8:9] offset:848
	global_load_b128 v[84:87], v0, s[8:9] offset:864
	v_mul_u32_u24_e32 v0, 5, v202
	v_lshrrev_b32_e32 v201, 21, v1
	v_mul_u32_u24_e32 v1, 0x8889, v187
	s_delay_alu instid0(VALU_DEP_3)
	v_lshlrev_b32_e32 v0, 4, v0
	s_clause 0x1
	global_load_b128 v[92:95], v0, s[8:9] offset:800
	global_load_b128 v[96:99], v0, s[8:9] offset:816
	v_mul_lo_u16 v2, v201, 60
	v_lshrrev_b32_e32 v203, 21, v1
	s_clause 0x1
	global_load_b128 v[104:107], v0, s[8:9] offset:832
	global_load_b128 v[100:103], v0, s[8:9] offset:848
	v_sub_nc_u16 v1, v172, v2
	v_mul_lo_u16 v2, v203, 60
	v_mul_u32_u24_e32 v234, 0x1680, v203
	s_delay_alu instid0(VALU_DEP_3) | instskip(NEXT) | instid1(VALU_DEP_3)
	v_and_b32_e32 v206, 0xffff, v1
	v_sub_nc_u16 v1, v166, v2
	s_delay_alu instid0(VALU_DEP_2) | instskip(NEXT) | instid1(VALU_DEP_2)
	v_mul_u32_u24_e32 v2, 5, v206
	v_and_b32_e32 v204, 0xffff, v1
	s_delay_alu instid0(VALU_DEP_2) | instskip(NEXT) | instid1(VALU_DEP_2)
	v_lshlrev_b32_e32 v1, 4, v2
	v_mul_u32_u24_e32 v2, 5, v204
	global_load_b128 v[80:83], v1, s[8:9] offset:816
	v_lshlrev_b32_e32 v2, 4, v2
	s_clause 0x9
	global_load_b128 v[76:79], v1, s[8:9] offset:848
	global_load_b128 v[32:35], v2, s[8:9] offset:816
	;; [unrolled: 1-line block ×10, first 2 shown]
	ds_load_b128 v[176:179], v193
	ds_load_b128 v[116:119], v190
	ds_load_b128 v[112:115], v188 offset:23040
	ds_load_b128 v[108:111], v188 offset:30720
	;; [unrolled: 1-line block ×10, first 2 shown]
	s_waitcnt vmcnt(24) lgkmcnt(11)
	v_mul_f64 v[186:187], v[178:179], v[46:47]
	s_waitcnt vmcnt(23) lgkmcnt(10)
	v_mul_f64 v[180:181], v[118:119], v[50:51]
	v_mul_f64 v[50:51], v[116:117], v[50:51]
	s_waitcnt vmcnt(22) lgkmcnt(9)
	v_mul_f64 v[182:183], v[114:115], v[62:63]
	;; [unrolled: 3-line block ×3, first 2 shown]
	v_mul_f64 v[46:47], v[176:177], v[46:47]
	v_mul_f64 v[54:55], v[108:109], v[54:55]
	s_waitcnt vmcnt(19) lgkmcnt(4)
	v_mul_f64 v[211:212], v[134:135], v[66:67]
	v_mul_f64 v[66:67], v[132:133], v[66:67]
	s_waitcnt vmcnt(17) lgkmcnt(2)
	v_mul_f64 v[213:214], v[126:127], v[74:75]
	v_fma_f64 v[176:177], v[176:177], v[44:45], v[186:187]
	v_mul_f64 v[186:187], v[138:139], v[58:59]
	v_mul_f64 v[58:59], v[136:137], v[58:59]
	;; [unrolled: 1-line block ×3, first 2 shown]
	v_fma_f64 v[180:181], v[116:117], v[48:49], v[180:181]
	v_fma_f64 v[116:117], v[118:119], v[48:49], -v[50:51]
	v_fma_f64 v[118:119], v[112:113], v[60:61], v[182:183]
	v_fma_f64 v[112:113], v[114:115], v[60:61], -v[184:185]
	v_fma_f64 v[182:183], v[108:109], v[52:53], v[62:63]
	ds_load_b128 v[60:63], v188 offset:39936
	v_fma_f64 v[178:179], v[178:179], v[44:45], -v[46:47]
	ds_load_b128 v[44:47], v188
	v_mul_f64 v[184:185], v[130:131], v[70:71]
	v_mul_f64 v[70:71], v[128:129], v[70:71]
	s_waitcnt vmcnt(16)
	v_mul_f64 v[217:218], v[120:121], v[90:91]
	ds_load_b128 v[48:51], v188 offset:13824
	v_fma_f64 v[110:111], v[110:111], v[52:53], -v[54:55]
	ds_load_b128 v[52:55], v188 offset:12288
	v_fma_f64 v[74:75], v[132:133], v[64:65], v[211:212]
	v_fma_f64 v[132:133], v[124:125], v[72:73], v[213:214]
	;; [unrolled: 1-line block ×3, first 2 shown]
	v_fma_f64 v[108:109], v[138:139], v[56:57], -v[58:59]
	v_mul_f64 v[186:187], v[122:123], v[90:91]
	ds_load_b128 v[136:139], v188 offset:10752
	v_fma_f64 v[90:91], v[134:135], v[64:65], -v[66:67]
	ds_load_b128 v[56:59], v188 offset:41472
	s_waitcnt vmcnt(15) lgkmcnt(5)
	v_mul_f64 v[134:135], v[62:63], v[86:87]
	v_mul_f64 v[211:212], v[60:61], v[86:87]
	ds_load_b128 v[64:67], v188 offset:18432
	v_fma_f64 v[86:87], v[126:127], v[72:73], -v[215:216]
	v_fma_f64 v[128:129], v[128:129], v[68:69], v[184:185]
	v_fma_f64 v[130:131], v[130:131], v[68:69], -v[70:71]
	ds_load_b128 v[68:71], v188 offset:19968
	v_fma_f64 v[122:123], v[122:123], v[88:89], -v[217:218]
	s_waitcnt vmcnt(14) lgkmcnt(3)
	v_mul_f64 v[72:73], v[138:139], v[94:95]
	v_mul_f64 v[94:95], v[136:137], v[94:95]
	s_waitcnt vmcnt(10) lgkmcnt(0)
	v_mul_f64 v[215:216], v[68:69], v[82:83]
	v_fma_f64 v[124:125], v[120:121], v[88:89], v[186:187]
	v_mul_f64 v[88:89], v[66:67], v[98:99]
	v_mul_f64 v[98:99], v[64:65], v[98:99]
	ds_load_b128 v[184:187], v188 offset:33792
	v_fma_f64 v[126:127], v[60:61], v[84:85], v[134:135]
	v_fma_f64 v[120:121], v[62:63], v[84:85], -v[211:212]
	ds_load_b128 v[211:214], v188 offset:35328
	v_mul_f64 v[60:61], v[209:210], v[106:107]
	v_mul_f64 v[62:63], v[207:208], v[106:107]
	;; [unrolled: 1-line block ×3, first 2 shown]
	s_waitcnt vmcnt(7)
	v_mul_f64 v[134:135], v[38:39], v[30:31]
	v_fma_f64 v[72:73], v[136:137], v[92:93], v[72:73]
	v_fma_f64 v[84:85], v[138:139], v[92:93], -v[94:95]
	s_waitcnt lgkmcnt(1)
	v_mul_f64 v[92:93], v[186:187], v[102:103]
	v_mul_f64 v[102:103], v[184:185], v[102:103]
	;; [unrolled: 1-line block ×3, first 2 shown]
	s_waitcnt lgkmcnt(0)
	v_mul_f64 v[217:218], v[211:212], v[78:79]
	v_mul_f64 v[138:139], v[40:41], v[34:35]
	;; [unrolled: 1-line block ×3, first 2 shown]
	v_fma_f64 v[82:83], v[64:65], v[96:97], v[88:89]
	v_fma_f64 v[88:89], v[66:67], v[96:97], -v[98:99]
	v_mul_f64 v[96:97], v[213:214], v[78:79]
	ds_load_b128 v[64:67], v188 offset:43008
	s_waitcnt vmcnt(6)
	v_mul_f64 v[98:99], v[58:59], v[26:27]
	v_fma_f64 v[34:35], v[207:208], v[104:105], v[60:61]
	v_fma_f64 v[78:79], v[209:210], v[104:105], -v[62:63]
	ds_load_b128 v[60:63], v188 offset:27648
	s_waitcnt vmcnt(5)
	v_mul_f64 v[104:105], v[54:55], v[22:23]
	v_fma_f64 v[36:37], v[36:37], v[28:29], v[134:135]
	s_waitcnt vmcnt(2)
	v_mul_f64 v[134:135], v[48:49], v[10:11]
	v_lshlrev_b32_e32 v210, 4, v198
	v_fma_f64 v[92:93], v[184:185], v[100:101], v[92:93]
	v_fma_f64 v[30:31], v[186:187], v[100:101], -v[102:103]
	v_mul_f64 v[102:103], v[56:57], v[26:27]
	v_fma_f64 v[100:101], v[68:69], v[80:81], v[106:107]
	v_mul_f64 v[106:107], v[52:53], v[22:23]
	v_fma_f64 v[80:81], v[70:71], v[80:81], -v[215:216]
	ds_load_b128 v[68:71], v188 offset:29184
	v_fma_f64 v[26:27], v[213:214], v[76:77], -v[217:218]
	s_waitcnt lgkmcnt(1)
	v_mul_f64 v[185:186], v[60:61], v[18:19]
	v_cndmask_b32_e64 v184, 0, 0x1680, s0
	v_fma_f64 v[28:29], v[38:39], v[28:29], -v[136:137]
	v_add_nc_u32_e32 v136, 0xffffffb8, v140
	v_cmp_gt_u32_e64 s0, 0x48, v140
	v_mul_f64 v[38:39], v[50:51], v[10:11]
	v_add_f64 v[213:214], v[178:179], v[112:113]
	v_and_b32_e32 v217, 0xffff, v162
	s_delay_alu instid0(VALU_DEP_4)
	v_cndmask_b32_e64 v174, v136, v172, s0
	v_fma_f64 v[22:23], v[211:212], v[76:77], v[96:97]
	v_mul_f64 v[76:77], v[62:63], v[18:19]
	v_fma_f64 v[18:19], v[40:41], v[32:33], v[94:95]
	v_fma_f64 v[32:33], v[42:43], v[32:33], -v[138:139]
	ds_load_b128 v[40:43], v188 offset:44544
	v_mul_f64 v[138:139], v[66:67], v[14:15]
	v_mul_f64 v[14:15], v[64:65], v[14:15]
	v_fma_f64 v[56:57], v[56:57], v[24:25], v[98:99]
	s_waitcnt vmcnt(1) lgkmcnt(1)
	v_mul_f64 v[136:137], v[70:71], v[6:7]
	v_mul_f64 v[6:7], v[68:69], v[6:7]
	v_fma_f64 v[52:53], v[52:53], v[20:21], v[104:105]
	v_lshlrev_b64 v[10:11], 4, v[174:175]
	v_lshlrev_b64 v[96:97], 4, v[140:141]
	v_lshlrev_b32_e32 v141, 4, v200
	v_add_f64 v[104:105], v[130:131], v[122:123]
	v_lshlrev_b64 v[94:95], 4, v[146:147]
	v_and_b32_e32 v147, 0xffff, v164
	v_mul_u32_u24_e32 v233, 0x2d83, v217
	v_add3_u32 v141, 0, v184, v141
	v_add_f64 v[217:218], v[132:133], -v[126:127]
	v_and_b32_e32 v200, 0xffff, v152
	v_mul_u32_u24_e32 v147, 0x2d83, v147
	v_fma_f64 v[24:25], v[58:59], v[24:25], -v[102:103]
	v_and_b32_e32 v102, 0xffff, v199
	s_waitcnt vmcnt(0) lgkmcnt(0)
	v_mul_f64 v[58:59], v[42:43], v[2:3]
	v_mul_f64 v[98:99], v[40:41], v[2:3]
	v_fma_f64 v[20:21], v[54:55], v[20:21], -v[106:107]
	v_add_f64 v[54:55], v[180:181], v[182:183]
	v_mul_u32_u24_e32 v209, 0x1680, v102
	v_add_f64 v[102:103], v[116:117], v[110:111]
	v_fma_f64 v[62:63], v[62:63], v[16:17], -v[185:186]
	v_add_f64 v[106:107], v[82:83], v[92:93]
	v_add_f64 v[186:187], v[80:81], v[26:27]
	v_add_co_u32 v199, s0, s8, v10
	s_delay_alu instid0(VALU_DEP_1)
	v_add_co_ci_u32_e64 v207, s0, s9, v11, s0
	v_fma_f64 v[38:39], v[48:49], v[8:9], v[38:39]
	v_add_f64 v[184:185], v[100:101], v[22:23]
	v_fma_f64 v[60:61], v[60:61], v[16:17], v[76:77]
	v_fma_f64 v[48:49], v[50:51], v[8:9], -v[134:135]
	v_add_f64 v[50:51], v[18:19], v[36:37]
	v_add_f64 v[134:135], v[32:33], v[28:29]
	v_fma_f64 v[64:65], v[64:65], v[12:13], v[138:139]
	v_fma_f64 v[66:67], v[66:67], v[12:13], -v[14:15]
	ds_load_b128 v[10:13], v197
	ds_load_b128 v[14:17], v196
	v_fma_f64 v[68:69], v[68:69], v[4:5], v[136:137]
	v_fma_f64 v[70:71], v[70:71], v[4:5], -v[6:7]
	ds_load_b128 v[2:5], v194
	v_add_co_u32 v198, s0, 0x1000, v199
	s_delay_alu instid0(VALU_DEP_1)
	v_add_co_ci_u32_e64 v199, s0, 0, v207, s0
	v_add_f64 v[207:208], v[46:47], v[116:117]
	v_add_f64 v[76:77], v[128:129], v[124:125]
	v_add3_u32 v231, 0, v209, v210
	v_add_f64 v[209:210], v[176:177], v[118:119]
	v_add_f64 v[138:139], v[88:89], v[30:31]
	v_lshlrev_b32_e32 v8, 4, v202
	v_add_f64 v[136:137], v[44:45], v[180:181]
	v_add_f64 v[116:117], v[116:117], -v[110:111]
	v_add_f64 v[180:181], v[180:181], -v[182:183]
	v_fma_f64 v[40:41], v[40:41], v[0:1], v[58:59]
	v_fma_f64 v[0:1], v[42:43], v[0:1], -v[98:99]
	s_waitcnt lgkmcnt(2)
	v_add_f64 v[42:43], v[10:11], v[128:129]
	v_add_f64 v[58:59], v[12:13], v[130:131]
	v_fma_f64 v[44:45], v[54:55], -0.5, v[44:45]
	v_add_f64 v[54:55], v[118:119], v[114:115]
	v_add3_u32 v232, 0, v205, v8
	ds_load_b128 v[6:9], v195
	s_waitcnt lgkmcnt(2)
	v_add_f64 v[211:212], v[14:15], v[82:83]
	v_fma_f64 v[46:47], v[102:103], -0.5, v[46:47]
	v_add_f64 v[102:103], v[112:113], v[108:109]
	v_fma_f64 v[106:107], v[106:107], -0.5, v[14:15]
	s_waitcnt lgkmcnt(1)
	v_add_f64 v[14:15], v[4:5], v[80:81]
	v_fma_f64 v[186:187], v[186:187], -0.5, v[4:5]
	v_add_f64 v[4:5], v[90:91], v[86:87]
	v_fma_f64 v[104:105], v[104:105], -0.5, v[12:13]
	;; [unrolled: 2-line block ×3, first 2 shown]
	v_add_f64 v[118:119], v[118:119], -v[114:115]
	v_add_f64 v[112:113], v[112:113], -v[108:109]
	v_add_f64 v[108:109], v[213:214], v[108:109]
	v_add_f64 v[213:214], v[72:73], v[34:35]
	v_add_f64 v[82:83], v[82:83], -v[92:93]
	v_add_f64 v[100:101], v[100:101], -v[22:23]
	;; [unrolled: 1-line block ×4, first 2 shown]
	v_lshlrev_b64 v[98:99], 4, v[148:149]
	s_waitcnt lgkmcnt(0)
	v_add_f64 v[2:3], v[6:7], v[18:19]
	v_fma_f64 v[50:51], v[50:51], -0.5, v[6:7]
	v_fma_f64 v[215:216], v[134:135], -0.5, v[8:9]
	v_add_f64 v[6:7], v[8:9], v[32:33]
	v_add_f64 v[8:9], v[86:87], v[120:121]
	;; [unrolled: 1-line block ×3, first 2 shown]
	v_add_f64 v[207:208], v[128:129], -v[124:125]
	v_fma_f64 v[76:77], v[76:77], -0.5, v[10:11]
	v_add_f64 v[10:11], v[16:17], v[88:89]
	v_add_f64 v[114:115], v[209:210], v[114:115]
	v_add_f64 v[209:210], v[130:131], -v[122:123]
	v_fma_f64 v[138:139], v[138:139], -0.5, v[16:17]
	v_add_f64 v[16:17], v[74:75], v[132:133]
	v_add_f64 v[42:43], v[42:43], v[124:125]
	v_add_f64 v[124:125], v[78:79], v[24:25]
	v_add_f64 v[58:59], v[58:59], v[122:123]
	v_add_f64 v[122:123], v[62:63], v[66:67]
	v_fma_f64 v[54:55], v[54:55], -0.5, v[176:177]
	v_add_f64 v[176:177], v[84:85], v[78:79]
	v_add_f64 v[86:87], v[86:87], -v[120:121]
	v_add_f64 v[136:137], v[136:137], v[182:183]
	v_fma_f64 v[102:103], v[102:103], -0.5, v[178:179]
	v_add_f64 v[178:179], v[34:35], v[56:57]
	v_add_f64 v[182:183], v[132:133], v[126:127]
	v_lshrrev_b32_e32 v132, 22, v147
	v_add_f64 v[120:121], v[4:5], v[120:121]
	v_add_f64 v[4:5], v[70:71], v[0:1]
	v_add_f64 v[34:35], v[34:35], -v[56:57]
	v_add_f64 v[88:89], v[88:89], -v[30:31]
	;; [unrolled: 1-line block ×4, first 2 shown]
	v_mul_u32_u24_e32 v149, 0x2d83, v200
	v_add_f64 v[56:57], v[213:214], v[56:57]
	v_add_co_u32 v134, s0, s8, v96
	s_delay_alu instid0(VALU_DEP_1) | instskip(NEXT) | instid1(VALU_DEP_4)
	v_add_co_ci_u32_e64 v135, s0, s9, v97, s0
	v_lshrrev_b32_e32 v133, 22, v149
	v_mul_lo_u16 v149, 0x168, v132
	v_add_co_u32 v128, s0, s8, v94
	s_delay_alu instid0(VALU_DEP_1)
	v_add_co_ci_u32_e64 v129, s0, s9, v95, s0
	v_fma_f64 v[8:9], v[8:9], -0.5, v[90:91]
	v_mul_u32_u24_e32 v90, 0x1680, v201
	v_lshlrev_b32_e32 v91, 4, v206
	v_add_f64 v[30:31], v[10:11], v[30:31]
	v_add_f64 v[10:11], v[20:21], v[62:63]
	v_add_f64 v[62:63], v[62:63], -v[66:67]
	v_fma_f64 v[221:222], v[82:83], s[4:5], v[138:139]
	v_add3_u32 v147, 0, v90, v91
	v_add_f64 v[90:91], v[211:212], v[92:93]
	v_add_f64 v[92:93], v[52:53], v[60:61]
	v_fma_f64 v[84:85], v[124:125], -0.5, v[84:85]
	v_add_f64 v[124:125], v[60:61], v[64:65]
	v_fma_f64 v[20:21], v[122:123], -0.5, v[20:21]
	v_add_f64 v[60:61], v[60:61], -v[64:65]
	v_add_f64 v[16:17], v[16:17], v[126:127]
	v_add_f64 v[126:127], v[38:39], v[68:69]
	;; [unrolled: 1-line block ×4, first 2 shown]
	v_fma_f64 v[72:73], v[178:179], -0.5, v[72:73]
	v_add_f64 v[178:179], v[68:69], v[40:41]
	v_add_f64 v[68:69], v[68:69], -v[40:41]
	v_fma_f64 v[48:49], v[4:5], -0.5, v[48:49]
	v_fma_f64 v[122:123], v[118:119], s[4:5], v[102:103]
	v_fma_f64 v[102:103], v[118:119], s[10:11], v[102:103]
	v_fma_f64 v[74:75], v[182:183], -0.5, v[74:75]
	v_add_f64 v[118:119], v[18:19], -v[36:37]
	v_add_f64 v[70:71], v[12:13], v[22:23]
	v_add_f64 v[211:212], v[14:15], v[26:27]
	;; [unrolled: 1-line block ×4, first 2 shown]
	v_add_f64 v[4:5], v[136:137], -v[114:115]
	v_add_f64 v[14:15], v[58:59], -v[120:121]
	v_fma_f64 v[138:139], v[82:83], s[10:11], v[138:139]
	v_sub_nc_u16 v149, v164, v149
	v_add_co_u32 v130, s0, s8, v98
	s_delay_alu instid0(VALU_DEP_1)
	v_add_co_ci_u32_e64 v131, s0, s9, v99, s0
	v_fma_f64 v[18:19], v[217:218], s[4:5], v[8:9]
	v_fma_f64 v[22:23], v[217:218], s[10:11], v[8:9]
	v_mul_lo_u16 v235, 0x168, v133
	v_and_b32_e32 v133, 0xffff, v149
	v_add_f64 v[66:67], v[10:11], v[66:67]
	v_add_f64 v[10:11], v[58:59], v[120:121]
	v_add_co_u32 v182, s0, 0x1000, v134
	v_lshlrev_b32_e32 v149, 4, v204
	v_add_f64 v[64:65], v[92:93], v[64:65]
	v_add_f64 v[92:93], v[6:7], v[28:29]
	v_fma_f64 v[28:29], v[34:35], s[4:5], v[84:85]
	v_fma_f64 v[34:35], v[34:35], s[10:11], v[84:85]
	v_fma_f64 v[26:27], v[124:125], -0.5, v[52:53]
	v_fma_f64 v[84:85], v[60:61], s[4:5], v[20:21]
	v_add_f64 v[40:41], v[126:127], v[40:41]
	v_add_f64 v[6:7], v[110:111], -v[108:109]
	v_add_f64 v[126:127], v[176:177], v[0:1]
	v_add_f64 v[0:1], v[136:137], v[114:115]
	v_fma_f64 v[108:109], v[116:117], s[10:11], v[44:45]
	v_fma_f64 v[114:115], v[116:117], s[4:5], v[44:45]
	v_fma_f64 v[44:45], v[60:61], s[10:11], v[20:21]
	v_fma_f64 v[38:39], v[178:179], -0.5, v[38:39]
	v_fma_f64 v[52:53], v[112:113], s[10:11], v[54:55]
	v_fma_f64 v[110:111], v[180:181], s[4:5], v[46:47]
	;; [unrolled: 1-line block ×5, first 2 shown]
	v_add_f64 v[8:9], v[42:43], v[16:17]
	v_add_f64 v[12:13], v[42:43], -v[16:17]
	v_fma_f64 v[42:43], v[68:69], s[10:11], v[48:49]
	v_mul_f64 v[58:59], v[122:123], s[10:11]
	v_mul_f64 v[68:69], v[122:123], 0.5
	v_mul_f64 v[120:121], v[102:103], s[10:11]
	v_mul_f64 v[102:103], v[102:103], -0.5
	v_fma_f64 v[48:49], v[86:87], s[10:11], v[74:75]
	v_fma_f64 v[74:75], v[86:87], s[4:5], v[74:75]
	;; [unrolled: 1-line block ×3, first 2 shown]
	v_mul_f64 v[122:123], v[18:19], s[10:11]
	v_mul_f64 v[124:125], v[18:19], 0.5
	v_mul_f64 v[86:87], v[22:23], s[10:11]
	v_mul_f64 v[136:137], v[22:23], -0.5
	v_add_f64 v[16:17], v[90:91], v[56:57]
	v_add_f64 v[20:21], v[90:91], -v[56:57]
	v_fma_f64 v[56:57], v[78:79], s[4:5], v[72:73]
	v_fma_f64 v[116:117], v[207:208], s[4:5], v[104:105]
	;; [unrolled: 1-line block ×5, first 2 shown]
	v_mul_f64 v[178:179], v[28:29], s[10:11]
	v_mul_f64 v[180:181], v[28:29], 0.5
	v_mul_f64 v[72:73], v[34:35], s[10:11]
	v_mul_f64 v[78:79], v[34:35], -0.5
	v_fma_f64 v[90:91], v[62:63], s[10:11], v[26:27]
	v_mul_f64 v[207:208], v[84:85], s[10:11]
	v_mul_f64 v[84:85], v[84:85], 0.5
	v_fma_f64 v[62:63], v[62:63], s[4:5], v[26:27]
	v_fma_f64 v[209:210], v[88:89], s[10:11], v[106:107]
	v_fma_f64 v[88:89], v[88:89], s[4:5], v[106:107]
	v_mul_f64 v[213:214], v[44:45], s[10:11]
	v_mul_f64 v[44:45], v[44:45], -0.5
	v_fma_f64 v[106:107], v[32:33], s[10:11], v[38:39]
	v_fma_f64 v[38:39], v[32:33], s[4:5], v[38:39]
	v_add_f64 v[18:19], v[30:31], v[24:25]
	v_add_f64 v[22:23], v[30:31], -v[24:25]
	v_mul_f64 v[217:218], v[54:55], s[10:11]
	v_mul_f64 v[54:55], v[54:55], 0.5
	v_add_f64 v[24:25], v[70:71], v[64:65]
	v_mul_f64 v[219:220], v[42:43], s[10:11]
	v_mul_f64 v[42:43], v[42:43], -0.5
	v_fma_f64 v[58:59], v[52:53], 0.5, v[58:59]
	v_fma_f64 v[52:53], v[52:53], s[4:5], v[68:69]
	v_fma_f64 v[68:69], v[46:47], -0.5, v[120:121]
	v_fma_f64 v[82:83], v[46:47], s[4:5], v[102:103]
	v_add_f64 v[28:29], v[70:71], -v[64:65]
	v_add_f64 v[26:27], v[211:212], v[66:67]
	v_fma_f64 v[102:103], v[48:49], 0.5, v[122:123]
	v_fma_f64 v[120:121], v[48:49], s[4:5], v[124:125]
	v_fma_f64 v[70:71], v[74:75], -0.5, v[86:87]
	v_fma_f64 v[74:75], v[74:75], s[4:5], v[136:137]
	v_fma_f64 v[124:125], v[80:81], s[10:11], v[184:185]
	v_add_f64 v[30:31], v[211:212], -v[66:67]
	v_fma_f64 v[211:212], v[202:203], s[10:11], v[50:51]
	v_fma_f64 v[225:226], v[118:119], s[4:5], v[215:216]
	;; [unrolled: 1-line block ×4, first 2 shown]
	v_add_f64 v[32:33], v[36:37], v[40:41]
	v_fma_f64 v[86:87], v[176:177], 0.5, v[178:179]
	v_fma_f64 v[122:123], v[176:177], s[4:5], v[180:181]
	v_fma_f64 v[136:137], v[56:57], -0.5, v[72:73]
	v_fma_f64 v[176:177], v[56:57], s[4:5], v[78:79]
	v_fma_f64 v[178:179], v[100:101], s[4:5], v[186:187]
	;; [unrolled: 1-line block ×3, first 2 shown]
	v_fma_f64 v[184:185], v[90:91], 0.5, v[207:208]
	v_fma_f64 v[207:208], v[90:91], s[4:5], v[84:85]
	v_fma_f64 v[186:187], v[100:101], s[10:11], v[186:187]
	v_add_f64 v[36:37], v[36:37], -v[40:41]
	v_fma_f64 v[213:214], v[62:63], -0.5, v[213:214]
	v_fma_f64 v[223:224], v[62:63], s[4:5], v[44:45]
	v_add_f64 v[34:35], v[92:93], v[126:127]
	v_add_co_ci_u32_e64 v183, s0, 0, v135, s0
	v_add_co_u32 v200, s0, 0x1000, v128
	v_fma_f64 v[217:218], v[106:107], 0.5, v[217:218]
	v_fma_f64 v[227:228], v[106:107], s[4:5], v[54:55]
	v_fma_f64 v[219:220], v[38:39], -0.5, v[219:220]
	v_fma_f64 v[229:230], v[38:39], s[4:5], v[42:43]
	v_add_f64 v[40:41], v[108:109], v[58:59]
	v_add_f64 v[42:43], v[110:111], v[52:53]
	v_add_f64 v[48:49], v[114:115], v[68:69]
	v_add_f64 v[50:51], v[60:61], v[82:83]
	v_add_f64 v[44:45], v[108:109], -v[58:59]
	v_add_f64 v[46:47], v[110:111], -v[52:53]
	;; [unrolled: 1-line block ×4, first 2 shown]
	v_add_f64 v[56:57], v[112:113], v[102:103]
	v_add_f64 v[58:59], v[116:117], v[120:121]
	;; [unrolled: 1-line block ×4, first 2 shown]
	v_add_f64 v[60:61], v[112:113], -v[102:103]
	v_add_f64 v[62:63], v[116:117], -v[120:121]
	;; [unrolled: 1-line block ×5, first 2 shown]
	v_add_f64 v[72:73], v[209:210], v[86:87]
	v_add_f64 v[74:75], v[221:222], v[122:123]
	;; [unrolled: 1-line block ×4, first 2 shown]
	v_add_f64 v[76:77], v[209:210], -v[86:87]
	v_add_f64 v[78:79], v[221:222], -v[122:123]
	;; [unrolled: 1-line block ×4, first 2 shown]
	v_add_f64 v[88:89], v[124:125], v[184:185]
	v_add_f64 v[90:91], v[178:179], v[207:208]
	;; [unrolled: 1-line block ×4, first 2 shown]
	v_add_f64 v[100:101], v[124:125], -v[184:185]
	v_add_f64 v[102:103], v[178:179], -v[207:208]
	;; [unrolled: 1-line block ×4, first 2 shown]
	v_lshlrev_b32_e32 v133, 4, v133
	v_add_f64 v[112:113], v[211:212], v[217:218]
	v_add_f64 v[114:115], v[225:226], v[227:228]
	;; [unrolled: 1-line block ×4, first 2 shown]
	v_add_f64 v[116:117], v[211:212], -v[217:218]
	v_add_f64 v[118:119], v[225:226], -v[227:228]
	;; [unrolled: 1-line block ×4, first 2 shown]
	v_add_co_ci_u32_e64 v201, s0, 0, v129, s0
	v_add_co_u32 v205, s0, 0x1000, v130
	v_add3_u32 v92, 0, v234, v149
	s_barrier
	buffer_gl0_inv
	ds_store_b128 v141, v[0:3]
	ds_store_b128 v141, v[40:43] offset:960
	ds_store_b128 v141, v[4:7] offset:2880
	ds_store_b128 v141, v[48:51] offset:1920
	ds_store_b128 v141, v[44:47] offset:3840
	ds_store_b128 v141, v[52:55] offset:4800
	ds_store_b128 v231, v[8:11]
	ds_store_b128 v231, v[56:59] offset:960
	ds_store_b128 v231, v[64:67] offset:1920
	ds_store_b128 v231, v[12:15] offset:2880
	ds_store_b128 v231, v[60:63] offset:3840
	ds_store_b128 v231, v[68:71] offset:4800
	;; [unrolled: 6-line block ×5, first 2 shown]
	v_sub_nc_u16 v0, v152, v235
	v_and_b32_e32 v4, 0xffff, v160
	v_add_co_ci_u32_e64 v206, s0, 0, v131, s0
	v_lshrrev_b32_e32 v1, 22, v233
	v_add_co_u32 v93, s0, s8, v133
	s_delay_alu instid0(VALU_DEP_1)
	v_add_co_ci_u32_e64 v136, null, s9, 0, s0
	v_add_co_u32 v106, s0, 0x2000, v134
	v_and_b32_e32 v2, 0xffff, v0
	v_mul_u32_u24_e32 v4, 0x2d83, v4
	v_add_co_ci_u32_e64 v107, s0, 0, v135, s0
	v_mul_lo_u16 v3, 0x168, v1
	v_add_co_u32 v0, s0, 0x1000, v93
	s_delay_alu instid0(VALU_DEP_1)
	v_add_co_ci_u32_e64 v1, s0, 0, v136, s0
	v_lshlrev_b32_e32 v136, 4, v2
	v_lshrrev_b32_e32 v4, 22, v4
	v_and_b32_e32 v6, 0xffff, v158
	v_sub_nc_u16 v5, v162, v3
	v_and_b32_e32 v11, 0xffff, v150
	v_add_co_u32 v7, s0, s8, v136
	v_mul_lo_u16 v9, 0x168, v4
	v_mul_u32_u24_e32 v6, 0x2d83, v6
	v_and_b32_e32 v5, 0xffff, v5
	v_add_co_ci_u32_e64 v8, null, s9, 0, s0
	v_add_co_u32 v4, s0, 0x1000, v7
	v_sub_nc_u16 v7, v160, v9
	v_lshrrev_b32_e32 v138, 22, v6
	v_lshlrev_b32_e32 v137, 4, v5
	v_add_co_ci_u32_e64 v5, s0, 0, v8, s0
	s_delay_alu instid0(VALU_DEP_4) | instskip(NEXT) | instid1(VALU_DEP_4)
	v_and_b32_e32 v9, 0xffff, v7
	v_mul_lo_u16 v10, 0x168, v138
	s_waitcnt lgkmcnt(0)
	s_barrier
	buffer_gl0_inv
	s_clause 0x5
	global_load_b128 v[48:51], v[205:206], off offset:1504
	global_load_b128 v[44:47], v[198:199], off offset:1504
	;; [unrolled: 1-line block ×6, first 2 shown]
	v_add_co_u32 v6, s0, s8, v137
	s_delay_alu instid0(VALU_DEP_1)
	v_add_co_ci_u32_e64 v8, null, s9, 0, s0
	v_mul_u32_u24_e32 v13, 0x2d83, v11
	v_sub_nc_u16 v12, v158, v10
	v_lshlrev_b32_e32 v139, 4, v9
	v_add_co_u32 v6, s0, 0x1000, v6
	v_and_b32_e32 v14, 0xffff, v156
	v_add_co_ci_u32_e64 v7, s0, 0, v8, s0
	v_lshrrev_b32_e32 v13, 22, v13
	v_and_b32_e32 v12, 0xffff, v12
	v_add_co_u32 v15, s0, s8, v139
	v_mul_u32_u24_e32 v14, 0x2d83, v14
	v_add_co_ci_u32_e64 v16, null, s9, 0, s0
	v_mul_lo_u16 v17, 0x168, v13
	v_lshlrev_b32_e32 v141, 4, v12
	v_add_co_u32 v12, s0, 0x1000, v15
	v_and_b32_e32 v15, 0xffff, v154
	v_lshrrev_b32_e32 v14, 22, v14
	v_add_co_ci_u32_e64 v13, s0, 0, v16, s0
	v_sub_nc_u16 v16, v150, v17
	s_delay_alu instid0(VALU_DEP_4) | instskip(NEXT) | instid1(VALU_DEP_4)
	v_mul_u32_u24_e32 v19, 0x2d83, v15
	v_mul_lo_u16 v20, 0x168, v14
	v_add_co_u32 v17, s0, s8, v141
	s_delay_alu instid0(VALU_DEP_4) | instskip(NEXT) | instid1(VALU_DEP_4)
	v_and_b32_e32 v16, 0xffff, v16
	v_lshrrev_b32_e32 v21, 22, v19
	s_delay_alu instid0(VALU_DEP_4) | instskip(SKIP_1) | instid1(VALU_DEP_4)
	v_sub_nc_u16 v20, v156, v20
	v_add_co_ci_u32_e64 v18, null, s9, 0, s0
	v_lshlrev_b32_e32 v147, 4, v16
	s_delay_alu instid0(VALU_DEP_4)
	v_mul_lo_u16 v21, 0x168, v21
	v_add_co_u32 v14, s0, 0x1000, v17
	v_and_b32_e32 v20, 0xffff, v20
	v_add_co_ci_u32_e64 v15, s0, 0, v18, s0
	v_add_co_u32 v22, s0, s8, v147
	v_sub_nc_u16 v24, v154, v21
	v_add_co_ci_u32_e64 v23, null, s9, 0, s0
	v_lshlrev_b32_e32 v149, 4, v20
	s_delay_alu instid0(VALU_DEP_4) | instskip(NEXT) | instid1(VALU_DEP_4)
	v_add_co_u32 v20, s0, 0x1000, v22
	v_and_b32_e32 v22, 0xffff, v24
	s_delay_alu instid0(VALU_DEP_4) | instskip(SKIP_4) | instid1(VALU_DEP_1)
	v_add_co_ci_u32_e64 v21, s0, 0, v23, s0
	s_clause 0x1
	global_load_b128 v[52:55], v[106:107], off offset:864
	global_load_b128 v[0:3], v[0:1], off offset:1504
	v_add_co_u32 v23, s0, s8, v149
	v_add_co_ci_u32_e64 v24, null, s9, 0, s0
	v_lshlrev_b32_e32 v176, 4, v22
	s_delay_alu instid0(VALU_DEP_3) | instskip(NEXT) | instid1(VALU_DEP_1)
	v_add_co_u32 v22, s0, 0x1000, v23
	v_add_co_ci_u32_e64 v23, s0, 0, v24, s0
	s_delay_alu instid0(VALU_DEP_3)
	v_add_co_u32 v28, s0, s8, v176
	s_clause 0x1
	global_load_b128 v[8:11], v[4:5], off offset:1504
	global_load_b128 v[4:7], v[6:7], off offset:1504
	v_add_co_ci_u32_e64 v29, null, s9, 0, s0
	s_clause 0x1
	global_load_b128 v[16:19], v[12:13], off offset:1504
	global_load_b128 v[12:15], v[14:15], off offset:1504
	v_add_co_u32 v28, s0, 0x1000, v28
	s_delay_alu instid0(VALU_DEP_1)
	v_add_co_ci_u32_e64 v29, s0, 0, v29, s0
	s_clause 0x2
	global_load_b128 v[24:27], v[20:21], off offset:1504
	global_load_b128 v[20:23], v[22:23], off offset:1504
	;; [unrolled: 1-line block ×3, first 2 shown]
	ds_load_b128 v[78:81], v188 offset:23040
	ds_load_b128 v[74:77], v188 offset:24576
	;; [unrolled: 1-line block ×4, first 2 shown]
	ds_load_b128 v[36:39], v188
	ds_load_b128 v[86:89], v188 offset:29184
	ds_load_b128 v[82:85], v188 offset:30720
	ds_load_b128 v[90:93], v188 offset:32256
	v_lshlrev_b64 v[102:103], 4, v[166:167]
	v_lshlrev_b64 v[104:105], 4, v[172:173]
	;; [unrolled: 1-line block ×3, first 2 shown]
	ds_load_b128 v[170:173], v188 offset:36864
	ds_load_b128 v[181:184], v188 offset:38400
	v_lshl_add_u32 v127, v168, 4, 0
	v_lshl_add_u32 v125, v152, 4, 0
	;; [unrolled: 1-line block ×8, first 2 shown]
	v_cmp_lt_u32_e64 s0, 0x47, v140
	v_dual_mov_b32 v219, v175 :: v_dual_add_nc_u32 v218, 0x150, v140
	v_dual_mov_b32 v221, v175 :: v_dual_add_nc_u32 v220, 0x1b0, v140
	s_delay_alu instid0(VALU_DEP_3)
	v_cndmask_b32_e64 v187, 0, 0x2d00, s0
	v_dual_mov_b32 v223, v175 :: v_dual_add_nc_u32 v222, 0x210, v140
	v_dual_mov_b32 v225, v175 :: v_dual_add_nc_u32 v224, 0x270, v140
	s_addc_u32 s4, s9, 0
	s_mov_b32 s5, exec_lo
	ds_load_b128 v[177:180], v188 offset:35328
	s_waitcnt vmcnt(13) lgkmcnt(7)
	v_mul_f64 v[116:117], v[68:69], v[46:47]
	s_waitcnt vmcnt(12)
	v_mul_f64 v[112:113], v[80:81], v[62:63]
	v_mul_f64 v[114:115], v[78:79], v[62:63]
	s_waitcnt vmcnt(10)
	v_mul_f64 v[108:109], v[76:77], v[58:59]
	v_mul_f64 v[110:111], v[74:75], v[58:59]
	;; [unrolled: 1-line block ×5, first 2 shown]
	s_waitcnt vmcnt(9) lgkmcnt(4)
	v_mul_f64 v[166:167], v[84:85], v[34:35]
	ds_load_b128 v[62:65], v188 offset:33792
	v_mul_f64 v[46:47], v[88:89], v[42:43]
	v_mul_f64 v[42:43], v[86:87], v[42:43]
	;; [unrolled: 1-line block ×3, first 2 shown]
	v_fma_f64 v[66:67], v[66:67], v[44:45], v[116:117]
	v_fma_f64 v[200:201], v[78:79], v[60:61], v[112:113]
	v_fma_f64 v[202:203], v[80:81], v[60:61], -v[114:115]
	ds_load_b128 v[78:81], v188 offset:39936
	ds_load_b128 v[112:115], v188 offset:41472
	v_fma_f64 v[74:75], v[74:75], v[56:57], v[108:109]
	v_fma_f64 v[76:77], v[76:77], v[56:57], -v[110:111]
	v_fma_f64 v[70:71], v[70:71], v[48:49], v[58:59]
	v_fma_f64 v[108:109], v[72:73], v[48:49], -v[50:51]
	v_fma_f64 v[68:69], v[68:69], v[44:45], -v[118:119]
	v_lshlrev_b64 v[72:73], 4, v[168:169]
	v_fma_f64 v[82:83], v[82:83], v[32:33], v[166:167]
	v_fma_f64 v[86:87], v[86:87], v[40:41], v[46:47]
	v_fma_f64 v[88:89], v[88:89], v[40:41], -v[42:43]
	v_fma_f64 v[34:35], v[84:85], v[32:33], -v[34:35]
	v_add_co_u32 v84, s0, s8, v104
	s_delay_alu instid0(VALU_DEP_1)
	v_add_co_ci_u32_e64 v85, s0, s9, v105, s0
	s_waitcnt vmcnt(8) lgkmcnt(6)
	v_mul_f64 v[185:186], v[92:93], v[54:55]
	v_mul_f64 v[198:199], v[90:91], v[54:55]
	ds_load_b128 v[48:51], v188 offset:43008
	ds_load_b128 v[54:57], v188 offset:44544
	s_waitcnt vmcnt(7) lgkmcnt(4)
	v_mul_f64 v[60:61], v[64:65], v[2:3]
	v_mul_f64 v[2:3], v[62:63], v[2:3]
	s_waitcnt vmcnt(6)
	v_mul_f64 v[58:59], v[179:180], v[10:11]
	v_mul_f64 v[10:11], v[177:178], v[10:11]
	s_waitcnt vmcnt(5)
	;; [unrolled: 3-line block ×3, first 2 shown]
	v_mul_f64 v[116:117], v[183:184], v[18:19]
	v_mul_f64 v[18:19], v[181:182], v[18:19]
	s_waitcnt vmcnt(3) lgkmcnt(3)
	v_mul_f64 v[118:119], v[80:81], v[14:15]
	v_mul_f64 v[168:169], v[78:79], v[14:15]
	s_waitcnt vmcnt(2) lgkmcnt(2)
	;; [unrolled: 3-line block ×4, first 2 shown]
	v_mul_f64 v[208:209], v[56:57], v[30:31]
	v_mul_f64 v[210:211], v[54:55], v[30:31]
	v_fma_f64 v[185:186], v[90:91], v[52:53], v[185:186]
	v_fma_f64 v[92:93], v[92:93], v[52:53], -v[198:199]
	v_add_co_u32 v90, s0, s8, v102
	v_fma_f64 v[198:199], v[62:63], v[0:1], v[60:61]
	v_fma_f64 v[212:213], v[64:65], v[0:1], -v[2:3]
	v_add_co_ci_u32_e64 v91, s0, s9, v103, s0
	v_fma_f64 v[177:178], v[177:178], v[8:9], v[58:59]
	v_fma_f64 v[179:180], v[179:180], v[8:9], -v[10:11]
	v_fma_f64 v[214:215], v[170:171], v[4:5], v[44:45]
	v_fma_f64 v[4:5], v[172:173], v[4:5], -v[110:111]
	;; [unrolled: 2-line block ×3, first 2 shown]
	ds_load_b128 v[0:3], v197
	ds_load_b128 v[6:9], v196
	;; [unrolled: 1-line block ×4, first 2 shown]
	v_fma_f64 v[228:229], v[78:79], v[12:13], v[118:119]
	v_fma_f64 v[230:231], v[80:81], v[12:13], -v[168:169]
	v_fma_f64 v[232:233], v[112:113], v[24:25], v[204:205]
	v_fma_f64 v[234:235], v[114:115], v[24:25], -v[26:27]
	;; [unrolled: 2-line block ×3, first 2 shown]
	ds_load_b128 v[14:17], v127
	ds_load_b128 v[44:47], v126
	;; [unrolled: 1-line block ×6, first 2 shown]
	v_fma_f64 v[240:241], v[54:55], v[28:29], v[208:209]
	v_fma_f64 v[56:57], v[56:57], v[28:29], -v[210:211]
	v_add_f64 v[18:19], v[36:37], -v[200:201]
	v_add_f64 v[20:21], v[38:39], -v[202:203]
	s_waitcnt lgkmcnt(9)
	v_add_f64 v[26:27], v[0:1], -v[74:75]
	v_add_f64 v[28:29], v[2:3], -v[76:77]
	s_waitcnt lgkmcnt(7)
	v_add_f64 v[52:53], v[30:31], -v[66:67]
	v_add_f64 v[54:55], v[32:33], -v[68:69]
	ds_load_b128 v[66:69], v123
	ds_load_b128 v[74:77], v122
	v_add_f64 v[48:49], v[6:7], -v[70:71]
	v_add_f64 v[50:51], v[8:9], -v[108:109]
	ds_load_b128 v[78:81], v121
	ds_load_b128 v[108:111], v120
	s_waitcnt lgkmcnt(10)
	v_add_f64 v[112:113], v[40:41], -v[86:87]
	v_add_f64 v[114:115], v[42:43], -v[88:89]
	s_waitcnt lgkmcnt(5)
	v_add_f64 v[116:117], v[22:23], -v[82:83]
	v_add_f64 v[118:119], v[24:25], -v[34:35]
	;; [unrolled: 1-line block ×10, first 2 shown]
	s_waitcnt lgkmcnt(4)
	v_add_f64 v[198:199], v[62:63], -v[216:217]
	v_add_f64 v[200:201], v[64:65], -v[226:227]
	s_waitcnt lgkmcnt(0)
	v_add_f64 v[202:203], v[66:67], -v[228:229]
	v_add_f64 v[204:205], v[68:69], -v[230:231]
	;; [unrolled: 1-line block ×6, first 2 shown]
	s_barrier
	v_add_f64 v[214:215], v[108:109], -v[240:241]
	v_add_f64 v[216:217], v[110:111], -v[56:57]
	v_fma_f64 v[34:35], v[36:37], 2.0, -v[18:19]
	v_fma_f64 v[36:37], v[38:39], 2.0, -v[20:21]
	buffer_gl0_inv
	ds_store_b128 v188, v[18:21] offset:5760
	v_add_co_u32 v88, s0, s8, v100
	v_fma_f64 v[0:1], v[0:1], 2.0, -v[26:27]
	v_fma_f64 v[2:3], v[2:3], 2.0, -v[28:29]
	;; [unrolled: 1-line block ×4, first 2 shown]
	v_add_co_ci_u32_e64 v89, s0, s9, v101, s0
	v_fma_f64 v[4:5], v[6:7], 2.0, -v[48:49]
	v_fma_f64 v[6:7], v[8:9], 2.0, -v[50:51]
	;; [unrolled: 1-line block ×16, first 2 shown]
	v_add_co_u32 v86, s0, s8, v72
	v_fma_f64 v[60:61], v[66:67], 2.0, -v[202:203]
	v_fma_f64 v[62:63], v[68:69], 2.0, -v[204:205]
	;; [unrolled: 1-line block ×8, first 2 shown]
	v_add_co_ci_u32_e64 v87, s0, s9, v73, s0
	v_lshlrev_b32_e32 v46, 4, v174
	v_add_co_u32 v12, s0, 0x2000, v128
	v_mul_u32_u24_e32 v78, 0x2d00, v132
	v_mul_u32_u24_e32 v79, 0x2d00, v138
	v_add_co_ci_u32_e64 v13, s0, 0, v129, s0
	v_add3_u32 v80, 0, v187, v46
	v_add_co_u32 v46, s0, 0x2000, v130
	v_add3_u32 v81, 0, v78, v133
	v_add3_u32 v108, 0, v79, v141
	v_add_nc_u32_e32 v109, 0, v136
	v_add_nc_u32_e32 v110, 0, v137
	;; [unrolled: 1-line block ×6, first 2 shown]
	ds_store_b128 v188, v[34:37]
	ds_store_b128 v197, v[0:3]
	ds_store_b128 v197, v[26:29] offset:5760
	ds_store_b128 v196, v[4:7]
	ds_store_b128 v196, v[48:51] offset:5760
	;; [unrolled: 2-line block ×3, first 2 shown]
	ds_store_b128 v188, v[18:21] offset:11904
	ds_store_b128 v188, v[22:25] offset:13440
	;; [unrolled: 1-line block ×6, first 2 shown]
	ds_store_b128 v81, v[38:41]
	ds_store_b128 v81, v[170:173] offset:5760
	ds_store_b128 v109, v[8:11] offset:23040
	;; [unrolled: 1-line block ×7, first 2 shown]
	ds_store_b128 v108, v[60:63]
	ds_store_b128 v108, v[202:205] offset:5760
	ds_store_b128 v132, v[64:67] offset:34560
	;; [unrolled: 1-line block ×7, first 2 shown]
	s_waitcnt lgkmcnt(0)
	s_barrier
	buffer_gl0_inv
	s_clause 0x1
	global_load_b128 v[56:59], v[106:107], off offset:3168
	global_load_b128 v[52:55], v[12:13], off offset:3168
	v_add_co_ci_u32_e64 v47, s0, 0, v131, s0
	v_add_co_u32 v78, s0, 0x2000, v84
	s_delay_alu instid0(VALU_DEP_1)
	v_add_co_ci_u32_e64 v79, s0, 0, v85, s0
	global_load_b128 v[48:51], v[46:47], off offset:3168
	v_add_co_u32 v0, s0, 0x2000, v90
	global_load_b128 v[40:43], v[78:79], off offset:3168
	v_add_co_ci_u32_e64 v1, s0, 0, v91, s0
	v_add_co_u32 v2, s0, 0x2000, v88
	s_delay_alu instid0(VALU_DEP_1) | instskip(SKIP_1) | instid1(VALU_DEP_1)
	v_add_co_ci_u32_e64 v3, s0, 0, v89, s0
	v_add_co_u32 v4, s0, 0x2000, v86
	v_add_co_ci_u32_e64 v5, s0, 0, v87, s0
	v_cmp_gt_u32_e64 s0, 48, v140
	s_clause 0x1
	global_load_b128 v[44:47], v[0:1], off offset:3168
	global_load_b128 v[36:39], v[2:3], off offset:3168
	v_lshlrev_b64 v[82:83], 4, v[218:219]
	v_lshlrev_b64 v[92:93], 4, v[220:221]
	v_cndmask_b32_e64 v174, v242, v164, s0
	v_add_co_u32 v6, s0, 0x3000, v134
	s_delay_alu instid0(VALU_DEP_1) | instskip(NEXT) | instid1(VALU_DEP_3)
	v_add_co_ci_u32_e64 v7, s0, 0, v135, s0
	v_lshlrev_b64 v[8:9], 4, v[174:175]
	v_add_co_u32 v10, s0, s8, v82
	s_delay_alu instid0(VALU_DEP_1) | instskip(SKIP_1) | instid1(VALU_DEP_4)
	v_add_co_ci_u32_e64 v11, s0, s9, v83, s0
	v_lshlrev_b64 v[185:186], 4, v[222:223]
	v_add_co_u32 v0, s0, s8, v8
	s_delay_alu instid0(VALU_DEP_1) | instskip(SKIP_1) | instid1(VALU_DEP_1)
	v_add_co_ci_u32_e64 v1, s0, s9, v9, s0
	v_add_co_u32 v2, s0, s8, v92
	v_add_co_ci_u32_e64 v3, s0, s9, v93, s0
	v_lshlrev_b64 v[218:219], 4, v[224:225]
	v_add_co_u32 v0, s0, 0x2000, v0
	s_delay_alu instid0(VALU_DEP_1) | instskip(SKIP_1) | instid1(VALU_DEP_1)
	v_add_co_ci_u32_e64 v1, s0, 0, v1, s0
	v_add_co_u32 v8, s0, s8, v185
	v_add_co_ci_u32_e64 v9, s0, s9, v186, s0
	v_add_co_u32 v16, s0, s8, v218
	s_delay_alu instid0(VALU_DEP_1) | instskip(SKIP_4) | instid1(VALU_DEP_1)
	v_add_co_ci_u32_e64 v17, s0, s9, v219, s0
	s_clause 0x1
	global_load_b128 v[32:35], v[4:5], off offset:3168
	global_load_b128 v[28:31], v[0:1], off offset:3168
	v_add_co_u32 v4, s0, 0x2000, v10
	v_add_co_ci_u32_e64 v5, s0, 0, v11, s0
	v_add_co_u32 v12, s0, 0x2000, v2
	global_load_b128 v[24:27], v[106:107], off offset:3936
	v_add_co_ci_u32_e64 v13, s0, 0, v3, s0
	v_add_co_u32 v14, s0, 0x2000, v8
	s_clause 0x1
	global_load_b128 v[20:23], v[6:7], off offset:1376
	global_load_b128 v[0:3], v[6:7], off offset:2912
	v_add_co_ci_u32_e64 v15, s0, 0, v9, s0
	v_add_co_u32 v16, s0, 0x2000, v16
	s_clause 0x1
	global_load_b128 v[8:11], v[4:5], off offset:3168
	global_load_b128 v[4:7], v[12:13], off offset:3168
	v_add_co_ci_u32_e64 v17, s0, 0, v17, s0
	s_clause 0x1
	global_load_b128 v[12:15], v[14:15], off offset:3168
	global_load_b128 v[16:19], v[16:17], off offset:3168
	ds_load_b128 v[68:71], v188 offset:23040
	ds_load_b128 v[64:67], v188 offset:24576
	;; [unrolled: 1-line block ×4, first 2 shown]
	ds_load_b128 v[110:113], v188
	ds_load_b128 v[114:117], v188 offset:29184
	ds_load_b128 v[136:139], v188 offset:30720
	v_lshlrev_b64 v[82:83], 4, v[164:165]
	v_lshlrev_b64 v[80:81], 4, v[152:153]
	;; [unrolled: 1-line block ×5, first 2 shown]
	v_cmp_lt_u32_e64 s0, 47, v140
	s_delay_alu instid0(VALU_DEP_1) | instskip(SKIP_1) | instid1(VALU_DEP_1)
	v_cndmask_b32_e64 v141, 0, 0x5a00, s0
	v_add_co_u32 v147, s0, s8, v82
	v_add_co_ci_u32_e64 v173, s0, s9, v83, s0
	v_add_co_u32 v187, s0, s8, v80
	s_delay_alu instid0(VALU_DEP_1) | instskip(SKIP_1) | instid1(VALU_DEP_1)
	v_add_co_ci_u32_e64 v234, s0, s9, v81, s0
	v_add_co_u32 v235, s0, s8, v78
	v_add_co_ci_u32_e64 v236, s0, s9, v79, s0
	v_add_co_u32 v237, s0, s8, v76
	s_delay_alu instid0(VALU_DEP_1) | instskip(SKIP_1) | instid1(VALU_DEP_1)
	v_add_co_ci_u32_e64 v238, s0, s9, v77, s0
	v_add_co_u32 v239, s0, s8, v74
	v_add_co_ci_u32_e64 v240, s0, s9, v75, s0
	s_waitcnt vmcnt(14) lgkmcnt(6)
	v_mul_f64 v[92:93], v[70:71], v[58:59]
	v_mul_f64 v[118:119], v[68:69], v[58:59]
	s_waitcnt vmcnt(13) lgkmcnt(5)
	v_mul_f64 v[132:133], v[66:67], v[54:55]
	v_mul_f64 v[165:166], v[64:65], v[54:55]
	v_lshlrev_b64 v[58:59], 4, v[150:151]
	ds_load_b128 v[149:152], v188 offset:32256
	v_lshlrev_b64 v[54:55], 4, v[156:157]
	ds_load_b128 v[157:160], v188 offset:35328
	s_waitcnt vmcnt(12) lgkmcnt(6)
	v_mul_f64 v[169:170], v[62:63], v[50:51]
	v_mul_f64 v[171:172], v[60:61], v[50:51]
	v_lshlrev_b64 v[50:51], 4, v[154:155]
	s_waitcnt vmcnt(11) lgkmcnt(5)
	v_mul_f64 v[175:176], v[108:109], v[42:43]
	v_mul_f64 v[42:43], v[106:107], v[42:43]
	ds_load_b128 v[153:156], v188 offset:33792
	v_add_co_u32 v241, s0, s8, v58
	s_delay_alu instid0(VALU_DEP_1) | instskip(SKIP_1) | instid1(VALU_DEP_1)
	v_add_co_ci_u32_e64 v242, s0, s9, v59, s0
	v_add_co_u32 v243, s0, s8, v54
	v_add_co_ci_u32_e64 v244, s0, s9, v55, s0
	v_add_co_u32 v245, s0, s8, v50
	s_waitcnt vmcnt(10) lgkmcnt(4)
	v_mul_f64 v[177:178], v[116:117], v[46:47]
	v_mul_f64 v[179:180], v[114:115], v[46:47]
	s_waitcnt vmcnt(9) lgkmcnt(3)
	v_mul_f64 v[181:182], v[138:139], v[38:39]
	v_mul_f64 v[38:39], v[136:137], v[38:39]
	v_add_co_ci_u32_e64 v246, s0, s9, v51, s0
	v_add_co_u32 v206, s0, 0x5000, v134
	s_delay_alu instid0(VALU_DEP_1)
	v_add_co_ci_u32_e64 v207, s0, 0, v135, s0
	v_fma_f64 v[92:93], v[68:69], v[56:57], v[92:93]
	v_fma_f64 v[56:57], v[70:71], v[56:57], -v[118:119]
	ds_load_b128 v[68:71], v188 offset:36864
	ds_load_b128 v[161:164], v188 offset:38400
	v_fma_f64 v[118:119], v[64:65], v[52:53], v[132:133]
	v_fma_f64 v[52:53], v[66:67], v[52:53], -v[165:166]
	ds_load_b128 v[64:67], v188 offset:39936
	ds_load_b128 v[165:168], v188 offset:41472
	;; [unrolled: 4-line block ×3, first 2 shown]
	v_fma_f64 v[175:176], v[106:107], v[40:41], v[175:176]
	v_fma_f64 v[185:186], v[108:109], v[40:41], -v[42:43]
	s_waitcnt vmcnt(8) lgkmcnt(8)
	v_mul_f64 v[183:184], v[151:152], v[34:35]
	v_mul_f64 v[34:35], v[149:150], v[34:35]
	s_waitcnt vmcnt(7) lgkmcnt(6)
	v_mul_f64 v[132:133], v[155:156], v[30:31]
	v_mul_f64 v[30:31], v[153:154], v[30:31]
	v_fma_f64 v[177:178], v[114:115], v[44:45], v[177:178]
	v_fma_f64 v[179:180], v[116:117], v[44:45], -v[179:180]
	v_fma_f64 v[198:199], v[138:139], v[36:37], -v[38:39]
	v_fma_f64 v[181:182], v[136:137], v[36:37], v[181:182]
	s_waitcnt vmcnt(6)
	v_mul_f64 v[40:41], v[159:160], v[26:27]
	v_mul_f64 v[26:27], v[157:158], v[26:27]
	s_waitcnt vmcnt(5) lgkmcnt(5)
	v_mul_f64 v[42:43], v[70:71], v[22:23]
	v_mul_f64 v[106:107], v[68:69], v[22:23]
	s_waitcnt vmcnt(4) lgkmcnt(4)
	;; [unrolled: 3-line block ×6, first 2 shown]
	v_mul_f64 v[116:117], v[62:63], v[18:19]
	v_mul_f64 v[136:137], v[60:61], v[18:19]
	v_fma_f64 v[183:184], v[149:150], v[32:33], v[183:184]
	v_fma_f64 v[200:201], v[151:152], v[32:33], -v[34:35]
	v_fma_f64 v[202:203], v[153:154], v[28:29], v[132:133]
	v_fma_f64 v[204:205], v[155:156], v[28:29], -v[30:31]
	;; [unrolled: 2-line block ×3, first 2 shown]
	ds_load_b128 v[22:25], v197
	ds_load_b128 v[26:29], v196
	v_fma_f64 v[212:213], v[68:69], v[20:21], v[42:43]
	v_fma_f64 v[214:215], v[70:71], v[20:21], -v[106:107]
	v_fma_f64 v[216:217], v[161:162], v[0:1], v[44:45]
	v_fma_f64 v[218:219], v[163:164], v[0:1], -v[2:3]
	ds_load_b128 v[18:21], v194
	ds_load_b128 v[30:33], v195
	;; [unrolled: 1-line block ×3, first 2 shown]
	v_fma_f64 v[220:221], v[64:65], v[8:9], v[108:109]
	v_fma_f64 v[222:223], v[66:67], v[8:9], -v[10:11]
	v_fma_f64 v[224:225], v[165:166], v[4:5], v[38:39]
	v_fma_f64 v[226:227], v[167:168], v[4:5], -v[6:7]
	v_add_f64 v[68:69], v[110:111], -v[92:93]
	v_fma_f64 v[228:229], v[46:47], v[12:13], v[114:115]
	v_fma_f64 v[230:231], v[48:49], v[12:13], -v[14:15]
	v_fma_f64 v[232:233], v[60:61], v[16:17], v[116:117]
	v_fma_f64 v[16:17], v[62:63], v[16:17], -v[136:137]
	ds_load_b128 v[0:3], v127
	ds_load_b128 v[4:7], v126
	;; [unrolled: 1-line block ×9, first 2 shown]
	v_add_f64 v[70:71], v[112:113], -v[56:57]
	v_lshlrev_b32_e32 v92, 4, v174
	s_waitcnt lgkmcnt(13)
	v_add_f64 v[106:107], v[22:23], -v[118:119]
	v_add_f64 v[108:109], v[24:25], -v[52:53]
	s_waitcnt lgkmcnt(12)
	v_add_f64 v[114:115], v[26:27], -v[169:170]
	v_add_f64 v[116:117], v[28:29], -v[171:172]
	v_add_co_u32 v52, s0, 0x5000, v128
	s_waitcnt lgkmcnt(11)
	v_add_f64 v[132:133], v[18:19], -v[175:176]
	v_add_f64 v[134:135], v[20:21], -v[185:186]
	s_waitcnt lgkmcnt(10)
	v_add_f64 v[136:137], v[30:31], -v[177:178]
	v_add_f64 v[138:139], v[32:33], -v[179:180]
	;; [unrolled: 3-line block ×5, first 2 shown]
	v_add_co_ci_u32_e64 v53, s0, 0, v129, s0
	s_waitcnt lgkmcnt(5)
	v_add_f64 v[161:162], v[12:13], -v[208:209]
	v_add_f64 v[163:164], v[14:15], -v[210:211]
	v_add_co_u32 v56, s0, 0x5000, v130
	s_waitcnt lgkmcnt(4)
	v_add_f64 v[165:166], v[38:39], -v[212:213]
	v_add_f64 v[167:168], v[40:41], -v[214:215]
	;; [unrolled: 1-line block ×4, first 2 shown]
	s_waitcnt lgkmcnt(3)
	v_add_f64 v[175:176], v[42:43], -v[220:221]
	v_add_f64 v[177:178], v[44:45], -v[222:223]
	s_waitcnt lgkmcnt(2)
	v_add_f64 v[179:180], v[46:47], -v[224:225]
	v_add_f64 v[181:182], v[48:49], -v[226:227]
	v_fma_f64 v[110:111], v[110:111], 2.0, -v[68:69]
	s_waitcnt lgkmcnt(1)
	v_add_f64 v[183:184], v[60:61], -v[228:229]
	v_add_f64 v[185:186], v[62:63], -v[230:231]
	s_waitcnt lgkmcnt(0)
	v_add_f64 v[198:199], v[64:65], -v[232:233]
	v_add_f64 v[200:201], v[66:67], -v[16:17]
	v_add_co_ci_u32_e64 v57, s0, 0, v131, s0
	v_fma_f64 v[112:113], v[112:113], 2.0, -v[70:71]
	v_fma_f64 v[22:23], v[22:23], 2.0, -v[106:107]
	;; [unrolled: 1-line block ×5, first 2 shown]
	s_barrier
	v_fma_f64 v[16:17], v[18:19], 2.0, -v[132:133]
	v_fma_f64 v[18:19], v[20:21], 2.0, -v[134:135]
	;; [unrolled: 1-line block ×10, first 2 shown]
	v_add_co_u32 v20, s0, 0x5000, v84
	v_fma_f64 v[12:13], v[12:13], 2.0, -v[161:162]
	v_fma_f64 v[14:15], v[14:15], 2.0, -v[163:164]
	v_add_co_ci_u32_e64 v21, s0, 0, v85, s0
	v_fma_f64 v[38:39], v[38:39], 2.0, -v[165:166]
	v_fma_f64 v[40:41], v[40:41], 2.0, -v[167:168]
	;; [unrolled: 1-line block ×8, first 2 shown]
	v_add_co_u32 v84, s0, 0x5000, v90
	v_fma_f64 v[60:61], v[60:61], 2.0, -v[183:184]
	v_fma_f64 v[62:63], v[62:63], 2.0, -v[185:186]
	;; [unrolled: 1-line block ×4, first 2 shown]
	v_add3_u32 v90, 0, v141, v92
	buffer_gl0_inv
	ds_store_b128 v188, v[68:71] offset:11520
	ds_store_b128 v188, v[110:113]
	ds_store_b128 v197, v[22:25]
	ds_store_b128 v197, v[106:109] offset:11520
	ds_store_b128 v196, v[26:29]
	ds_store_b128 v196, v[114:117] offset:11520
	;; [unrolled: 2-line block ×7, first 2 shown]
	ds_store_b128 v188, v[12:15] offset:23808
	ds_store_b128 v188, v[38:41] offset:25344
	;; [unrolled: 1-line block ×14, first 2 shown]
	s_waitcnt lgkmcnt(0)
	s_barrier
	buffer_gl0_inv
	s_clause 0x3
	global_load_b128 v[0:3], v[206:207], off offset:2400
	global_load_b128 v[4:7], v[52:53], off offset:2400
	;; [unrolled: 1-line block ×4, first 2 shown]
	v_add_co_ci_u32_e64 v85, s0, 0, v91, s0
	v_add_co_u32 v22, s0, 0x5000, v88
	s_delay_alu instid0(VALU_DEP_1) | instskip(SKIP_2) | instid1(VALU_DEP_1)
	v_add_co_ci_u32_e64 v23, s0, 0, v89, s0
	global_load_b128 v[16:19], v[84:85], off offset:2400
	v_add_co_u32 v24, s0, 0x5000, v86
	v_add_co_ci_u32_e64 v25, s0, 0, v87, s0
	v_add_co_u32 v28, s0, 0x5000, v147
	s_delay_alu instid0(VALU_DEP_1) | instskip(SKIP_1) | instid1(VALU_DEP_1)
	v_add_co_ci_u32_e64 v29, s0, 0, v173, s0
	v_add_co_u32 v32, s0, 0x5000, v187
	v_add_co_ci_u32_e64 v33, s0, 0, v234, s0
	v_add_co_u32 v36, s0, 0x5000, v235
	s_delay_alu instid0(VALU_DEP_1) | instskip(SKIP_1) | instid1(VALU_DEP_1)
	v_add_co_ci_u32_e64 v37, s0, 0, v236, s0
	v_add_co_u32 v40, s0, 0x5000, v237
	v_add_co_ci_u32_e64 v41, s0, 0, v238, s0
	v_add_co_u32 v44, s0, 0x5000, v239
	s_clause 0x3
	global_load_b128 v[20:23], v[22:23], off offset:2400
	global_load_b128 v[24:27], v[24:25], off offset:2400
	;; [unrolled: 1-line block ×4, first 2 shown]
	v_add_co_ci_u32_e64 v45, s0, 0, v240, s0
	v_add_co_u32 v48, s0, 0x5000, v241
	s_delay_alu instid0(VALU_DEP_1)
	v_add_co_ci_u32_e64 v49, s0, 0, v242, s0
	v_add_co_u32 v52, s0, 0x5000, v243
	s_clause 0x1
	global_load_b128 v[36:39], v[36:37], off offset:2400
	global_load_b128 v[40:43], v[40:41], off offset:2400
	v_add_co_ci_u32_e64 v53, s0, 0, v244, s0
	s_clause 0x1
	global_load_b128 v[44:47], v[44:45], off offset:2400
	global_load_b128 v[60:63], v[48:49], off offset:2400
	v_add_co_u32 v48, s0, 0x5000, v245
	s_delay_alu instid0(VALU_DEP_1)
	v_add_co_ci_u32_e64 v49, s0, 0, v246, s0
	s_clause 0x1
	global_load_b128 v[64:67], v[52:53], off offset:2400
	global_load_b128 v[68:71], v[48:49], off offset:2400
	ds_load_b128 v[84:87], v188 offset:23040
	ds_load_b128 v[88:91], v188 offset:24576
	;; [unrolled: 1-line block ×4, first 2 shown]
	ds_load_b128 v[114:117], v188
	ds_load_b128 v[128:131], v188 offset:29184
	ds_load_b128 v[132:135], v188 offset:30720
	ds_load_b128 v[136:139], v188 offset:32256
	ds_load_b128 v[149:152], v188 offset:33792
	ds_load_b128 v[153:156], v188 offset:35328
	ds_load_b128 v[157:160], v188 offset:36864
	ds_load_b128 v[161:164], v188 offset:38400
	ds_load_b128 v[165:168], v188 offset:39936
	ds_load_b128 v[169:172], v188 offset:41472
	ds_load_b128 v[173:176], v188 offset:43008
	ds_load_b128 v[177:180], v188 offset:44544
	s_waitcnt vmcnt(14) lgkmcnt(15)
	v_mul_f64 v[48:49], v[86:87], v[2:3]
	v_mul_f64 v[2:3], v[84:85], v[2:3]
	s_waitcnt vmcnt(13) lgkmcnt(14)
	v_mul_f64 v[52:53], v[90:91], v[6:7]
	v_mul_f64 v[6:7], v[88:89], v[6:7]
	;; [unrolled: 3-line block ×3, first 2 shown]
	s_waitcnt lgkmcnt(12)
	v_mul_f64 v[92:93], v[112:113], v[14:15]
	v_mul_f64 v[14:15], v[110:111], v[14:15]
	s_waitcnt vmcnt(10) lgkmcnt(10)
	v_mul_f64 v[118:119], v[130:131], v[18:19]
	v_mul_f64 v[18:19], v[128:129], v[18:19]
	s_waitcnt vmcnt(9) lgkmcnt(9)
	;; [unrolled: 3-line block ×5, first 2 shown]
	v_mul_f64 v[198:199], v[155:156], v[34:35]
	v_mul_f64 v[34:35], v[153:154], v[34:35]
	v_fma_f64 v[48:49], v[84:85], v[0:1], v[48:49]
	v_fma_f64 v[84:85], v[86:87], v[0:1], -v[2:3]
	v_fma_f64 v[52:53], v[88:89], v[4:5], v[52:53]
	s_waitcnt vmcnt(5) lgkmcnt(5)
	v_mul_f64 v[86:87], v[159:160], v[38:39]
	v_mul_f64 v[38:39], v[157:158], v[38:39]
	s_waitcnt vmcnt(4) lgkmcnt(4)
	v_mul_f64 v[200:201], v[163:164], v[42:43]
	v_mul_f64 v[42:43], v[161:162], v[42:43]
	v_fma_f64 v[88:89], v[90:91], v[4:5], -v[6:7]
	s_waitcnt vmcnt(3) lgkmcnt(3)
	v_mul_f64 v[90:91], v[167:168], v[46:47]
	v_mul_f64 v[46:47], v[165:166], v[46:47]
	s_waitcnt vmcnt(2) lgkmcnt(2)
	v_mul_f64 v[202:203], v[171:172], v[62:63]
	v_mul_f64 v[62:63], v[169:170], v[62:63]
	v_fma_f64 v[56:57], v[106:107], v[8:9], v[56:57]
	v_fma_f64 v[106:107], v[108:109], v[8:9], -v[10:11]
	s_waitcnt vmcnt(1) lgkmcnt(1)
	v_mul_f64 v[108:109], v[175:176], v[66:67]
	v_mul_f64 v[66:67], v[173:174], v[66:67]
	s_waitcnt vmcnt(0) lgkmcnt(0)
	v_mul_f64 v[204:205], v[179:180], v[70:71]
	v_mul_f64 v[70:71], v[177:178], v[70:71]
	v_fma_f64 v[92:93], v[110:111], v[12:13], v[92:93]
	v_fma_f64 v[110:111], v[112:113], v[12:13], -v[14:15]
	v_fma_f64 v[112:113], v[128:129], v[16:17], v[118:119]
	v_fma_f64 v[118:119], v[130:131], v[16:17], -v[18:19]
	ds_load_b128 v[0:3], v197
	ds_load_b128 v[4:7], v196
	;; [unrolled: 1-line block ×5, first 2 shown]
	v_fma_f64 v[128:129], v[132:133], v[20:21], v[181:182]
	v_fma_f64 v[130:131], v[134:135], v[20:21], -v[22:23]
	v_fma_f64 v[132:133], v[136:137], v[24:25], v[183:184]
	v_fma_f64 v[134:135], v[138:139], v[24:25], -v[26:27]
	;; [unrolled: 2-line block ×6, first 2 shown]
	s_waitcnt lgkmcnt(4)
	v_add_f64 v[86:87], v[2:3], -v[88:89]
	v_fma_f64 v[161:162], v[165:166], v[44:45], v[90:91]
	v_fma_f64 v[163:164], v[167:168], v[44:45], -v[46:47]
	v_fma_f64 v[165:166], v[169:170], v[60:61], v[202:203]
	v_fma_f64 v[167:168], v[171:172], v[60:61], -v[62:63]
	s_waitcnt lgkmcnt(3)
	v_add_f64 v[88:89], v[4:5], -v[56:57]
	v_add_f64 v[90:91], v[6:7], -v[106:107]
	v_fma_f64 v[169:170], v[173:174], v[64:65], v[108:109]
	v_fma_f64 v[171:172], v[175:176], v[64:65], -v[66:67]
	v_fma_f64 v[173:174], v[177:178], v[68:69], v[204:205]
	v_fma_f64 v[175:176], v[179:180], v[68:69], -v[70:71]
	ds_load_b128 v[20:23], v127
	ds_load_b128 v[24:27], v126
	ds_load_b128 v[28:31], v125
	ds_load_b128 v[32:35], v124
	ds_load_b128 v[36:39], v190
	ds_load_b128 v[40:43], v123
	ds_load_b128 v[44:47], v122
	ds_load_b128 v[60:63], v121
	ds_load_b128 v[64:67], v120
	v_add_f64 v[68:69], v[114:115], -v[48:49]
	v_add_f64 v[70:71], v[116:117], -v[84:85]
	;; [unrolled: 1-line block ×3, first 2 shown]
	s_waitcnt lgkmcnt(11)
	v_add_f64 v[106:107], v[8:9], -v[92:93]
	v_add_f64 v[108:109], v[10:11], -v[110:111]
	s_waitcnt lgkmcnt(10)
	v_add_f64 v[110:111], v[12:13], -v[112:113]
	v_add_f64 v[112:113], v[14:15], -v[118:119]
	s_waitcnt lgkmcnt(0)
	s_barrier
	buffer_gl0_inv
	v_add_f64 v[128:129], v[16:17], -v[128:129]
	v_add_f64 v[130:131], v[18:19], -v[130:131]
	;; [unrolled: 1-line block ×12, first 2 shown]
	v_fma_f64 v[2:3], v[2:3], 2.0, -v[86:87]
	v_add_f64 v[161:162], v[40:41], -v[161:162]
	v_add_f64 v[163:164], v[42:43], -v[163:164]
	v_add_f64 v[165:166], v[44:45], -v[165:166]
	v_add_f64 v[167:168], v[46:47], -v[167:168]
	v_fma_f64 v[4:5], v[4:5], 2.0, -v[88:89]
	v_fma_f64 v[6:7], v[6:7], 2.0, -v[90:91]
	v_add_f64 v[169:170], v[60:61], -v[169:170]
	v_add_f64 v[171:172], v[62:63], -v[171:172]
	;; [unrolled: 1-line block ×4, first 2 shown]
	v_fma_f64 v[114:115], v[114:115], 2.0, -v[68:69]
	v_fma_f64 v[116:117], v[116:117], 2.0, -v[70:71]
	;; [unrolled: 1-line block ×27, first 2 shown]
	ds_store_b128 v188, v[68:71] offset:23040
	ds_store_b128 v188, v[114:117]
	ds_store_b128 v197, v[0:3]
	ds_store_b128 v197, v[84:87] offset:23040
	ds_store_b128 v196, v[4:7]
	ds_store_b128 v196, v[88:91] offset:23040
	;; [unrolled: 2-line block ×14, first 2 shown]
	s_waitcnt lgkmcnt(0)
	s_barrier
	buffer_gl0_inv
	ds_load_b128 v[8:11], v188
	v_sub_nc_u32_e32 v12, 0, v189
                                        ; implicit-def: $vgpr2_vgpr3
                                        ; implicit-def: $vgpr6_vgpr7
	v_cmpx_ne_u32_e32 0, v140
	s_xor_b32 s5, exec_lo, s5
	s_cbranch_execz .LBB0_15
; %bb.14:
	v_add_co_u32 v0, s0, s1, v96
	s_delay_alu instid0(VALU_DEP_1)
	v_add_co_ci_u32_e64 v1, s0, s4, v97, s0
	ds_load_b128 v[13:16], v12 offset:46080
	global_load_b128 v[2:5], v[0:1], off
	s_waitcnt lgkmcnt(0)
	v_add_f64 v[0:1], v[8:9], -v[13:14]
	v_add_f64 v[6:7], v[10:11], v[15:16]
	v_add_f64 v[10:11], v[10:11], -v[15:16]
	s_delay_alu instid0(VALU_DEP_3) | instskip(SKIP_1) | instid1(VALU_DEP_4)
	v_mul_f64 v[15:16], v[0:1], 0.5
	v_add_f64 v[0:1], v[8:9], v[13:14]
	v_mul_f64 v[8:9], v[6:7], 0.5
	s_delay_alu instid0(VALU_DEP_4) | instskip(SKIP_1) | instid1(VALU_DEP_4)
	v_mul_f64 v[6:7], v[10:11], 0.5
	s_waitcnt vmcnt(0)
	v_mul_f64 v[10:11], v[15:16], v[4:5]
	s_delay_alu instid0(VALU_DEP_2) | instskip(NEXT) | instid1(VALU_DEP_2)
	v_fma_f64 v[13:14], v[8:9], v[4:5], v[6:7]
	v_fma_f64 v[17:18], v[0:1], 0.5, v[10:11]
	v_fma_f64 v[0:1], v[0:1], 0.5, -v[10:11]
	v_fma_f64 v[10:11], v[8:9], v[4:5], -v[6:7]
	s_delay_alu instid0(VALU_DEP_4) | instskip(NEXT) | instid1(VALU_DEP_4)
	v_fma_f64 v[6:7], -v[2:3], v[15:16], v[13:14]
	v_fma_f64 v[4:5], v[8:9], v[2:3], v[17:18]
	s_delay_alu instid0(VALU_DEP_4) | instskip(NEXT) | instid1(VALU_DEP_4)
	v_fma_f64 v[0:1], -v[8:9], v[2:3], v[0:1]
	v_fma_f64 v[2:3], -v[2:3], v[15:16], v[10:11]
                                        ; implicit-def: $vgpr8_vgpr9
.LBB0_15:
	s_or_saveexec_b32 s0, s5
	v_mul_i32_i24_e32 v14, 0xffffff70, v146
	v_mul_i32_i24_e32 v13, 0xffffff70, v148
	s_xor_b32 exec_lo, exec_lo, s0
	s_cbranch_execz .LBB0_17
; %bb.16:
	s_waitcnt lgkmcnt(0)
	v_add_f64 v[4:5], v[8:9], v[10:11]
	v_add_f64 v[0:1], v[8:9], -v[10:11]
	v_mov_b32_e32 v10, 0
	v_mov_b32_e32 v6, 0
	;; [unrolled: 1-line block ×3, first 2 shown]
	s_delay_alu instid0(VALU_DEP_2)
	v_mov_b32_e32 v2, v6
	ds_load_b64 v[8:9], v10 offset:23048
	v_mov_b32_e32 v3, v7
	s_waitcnt lgkmcnt(0)
	v_xor_b32_e32 v9, 0x80000000, v9
	ds_store_b64 v10, v[8:9] offset:23048
.LBB0_17:
	s_or_b32 exec_lo, exec_lo, s0
	s_waitcnt lgkmcnt(0)
	v_add_co_u32 v8, s0, s1, v94
	s_delay_alu instid0(VALU_DEP_1) | instskip(SKIP_1) | instid1(VALU_DEP_1)
	v_add_co_ci_u32_e64 v9, s0, s4, v95, s0
	v_add_co_u32 v15, s0, s1, v98
	v_add_co_ci_u32_e64 v16, s0, s4, v99, s0
	global_load_b128 v[8:11], v[8:9], off
	v_add_nc_u32_e32 v14, v192, v14
	global_load_b128 v[15:18], v[15:16], off
	ds_store_b128 v188, v[4:7]
	ds_store_b128 v12, v[0:3] offset:46080
	ds_load_b128 v[0:3], v14
	ds_load_b128 v[4:7], v12 offset:44544
	s_waitcnt lgkmcnt(0)
	v_add_f64 v[19:20], v[0:1], -v[4:5]
	v_add_f64 v[21:22], v[2:3], v[6:7]
	v_add_f64 v[2:3], v[2:3], -v[6:7]
	v_add_f64 v[0:1], v[0:1], v[4:5]
	s_delay_alu instid0(VALU_DEP_4) | instskip(NEXT) | instid1(VALU_DEP_4)
	v_mul_f64 v[6:7], v[19:20], 0.5
	v_mul_f64 v[19:20], v[21:22], 0.5
	s_delay_alu instid0(VALU_DEP_4) | instskip(SKIP_1) | instid1(VALU_DEP_3)
	v_mul_f64 v[2:3], v[2:3], 0.5
	s_waitcnt vmcnt(1)
	v_mul_f64 v[4:5], v[6:7], v[10:11]
	s_delay_alu instid0(VALU_DEP_2) | instskip(SKIP_1) | instid1(VALU_DEP_3)
	v_fma_f64 v[21:22], v[19:20], v[10:11], v[2:3]
	v_fma_f64 v[10:11], v[19:20], v[10:11], -v[2:3]
	v_fma_f64 v[23:24], v[0:1], 0.5, v[4:5]
	v_fma_f64 v[4:5], v[0:1], 0.5, -v[4:5]
	s_delay_alu instid0(VALU_DEP_4) | instskip(NEXT) | instid1(VALU_DEP_4)
	v_fma_f64 v[2:3], -v[8:9], v[6:7], v[21:22]
	v_fma_f64 v[6:7], -v[8:9], v[6:7], v[10:11]
	s_delay_alu instid0(VALU_DEP_4) | instskip(NEXT) | instid1(VALU_DEP_4)
	v_fma_f64 v[0:1], v[19:20], v[8:9], v[23:24]
	v_fma_f64 v[4:5], -v[19:20], v[8:9], v[4:5]
	v_add_co_u32 v8, s0, s1, v104
	s_delay_alu instid0(VALU_DEP_1)
	v_add_co_ci_u32_e64 v9, s0, s4, v105, s0
	v_add_nc_u32_e32 v23, v191, v13
	global_load_b128 v[8:11], v[8:9], off
	ds_store_b128 v14, v[0:3]
	ds_store_b128 v12, v[4:7] offset:44544
	ds_load_b128 v[0:3], v23
	ds_load_b128 v[4:7], v12 offset:43008
	s_waitcnt lgkmcnt(0)
	v_add_f64 v[13:14], v[0:1], -v[4:5]
	v_add_f64 v[19:20], v[2:3], v[6:7]
	v_add_f64 v[2:3], v[2:3], -v[6:7]
	v_add_f64 v[0:1], v[0:1], v[4:5]
	s_delay_alu instid0(VALU_DEP_4) | instskip(NEXT) | instid1(VALU_DEP_4)
	v_mul_f64 v[6:7], v[13:14], 0.5
	v_mul_f64 v[13:14], v[19:20], 0.5
	s_delay_alu instid0(VALU_DEP_4) | instskip(SKIP_1) | instid1(VALU_DEP_3)
	v_mul_f64 v[2:3], v[2:3], 0.5
	s_waitcnt vmcnt(1)
	v_mul_f64 v[4:5], v[6:7], v[17:18]
	s_delay_alu instid0(VALU_DEP_2) | instskip(SKIP_1) | instid1(VALU_DEP_3)
	v_fma_f64 v[19:20], v[13:14], v[17:18], v[2:3]
	v_fma_f64 v[17:18], v[13:14], v[17:18], -v[2:3]
	v_fma_f64 v[21:22], v[0:1], 0.5, v[4:5]
	v_fma_f64 v[4:5], v[0:1], 0.5, -v[4:5]
	s_delay_alu instid0(VALU_DEP_4) | instskip(NEXT) | instid1(VALU_DEP_4)
	v_fma_f64 v[2:3], -v[15:16], v[6:7], v[19:20]
	v_fma_f64 v[6:7], -v[15:16], v[6:7], v[17:18]
	s_delay_alu instid0(VALU_DEP_4) | instskip(NEXT) | instid1(VALU_DEP_4)
	v_fma_f64 v[0:1], v[13:14], v[15:16], v[21:22]
	v_fma_f64 v[4:5], -v[13:14], v[15:16], v[4:5]
	v_add_co_u32 v13, s0, s1, v102
	s_delay_alu instid0(VALU_DEP_1)
	v_add_co_ci_u32_e64 v14, s0, s4, v103, s0
	global_load_b128 v[13:16], v[13:14], off
	ds_store_b128 v23, v[0:3]
	ds_store_b128 v12, v[4:7] offset:43008
	ds_load_b128 v[0:3], v194
	ds_load_b128 v[4:7], v12 offset:41472
	s_waitcnt lgkmcnt(0)
	v_add_f64 v[17:18], v[0:1], -v[4:5]
	v_add_f64 v[19:20], v[2:3], v[6:7]
	v_add_f64 v[2:3], v[2:3], -v[6:7]
	v_add_f64 v[0:1], v[0:1], v[4:5]
	s_delay_alu instid0(VALU_DEP_4) | instskip(NEXT) | instid1(VALU_DEP_4)
	v_mul_f64 v[6:7], v[17:18], 0.5
	v_mul_f64 v[17:18], v[19:20], 0.5
	s_delay_alu instid0(VALU_DEP_4) | instskip(SKIP_1) | instid1(VALU_DEP_3)
	v_mul_f64 v[2:3], v[2:3], 0.5
	s_waitcnt vmcnt(1)
	v_mul_f64 v[4:5], v[6:7], v[10:11]
	s_delay_alu instid0(VALU_DEP_2) | instskip(SKIP_1) | instid1(VALU_DEP_3)
	v_fma_f64 v[19:20], v[17:18], v[10:11], v[2:3]
	v_fma_f64 v[10:11], v[17:18], v[10:11], -v[2:3]
	v_fma_f64 v[21:22], v[0:1], 0.5, v[4:5]
	v_fma_f64 v[4:5], v[0:1], 0.5, -v[4:5]
	s_delay_alu instid0(VALU_DEP_4) | instskip(NEXT) | instid1(VALU_DEP_4)
	v_fma_f64 v[2:3], -v[8:9], v[6:7], v[19:20]
	v_fma_f64 v[6:7], -v[8:9], v[6:7], v[10:11]
	s_delay_alu instid0(VALU_DEP_4) | instskip(NEXT) | instid1(VALU_DEP_4)
	v_fma_f64 v[0:1], v[17:18], v[8:9], v[21:22]
	v_fma_f64 v[4:5], -v[17:18], v[8:9], v[4:5]
	v_add_co_u32 v8, s0, s1, v100
	s_delay_alu instid0(VALU_DEP_1)
	v_add_co_ci_u32_e64 v9, s0, s4, v101, s0
	global_load_b128 v[8:11], v[8:9], off
	ds_store_b128 v194, v[0:3]
	ds_store_b128 v12, v[4:7] offset:41472
	ds_load_b128 v[0:3], v195
	ds_load_b128 v[4:7], v12 offset:39936
	s_waitcnt lgkmcnt(0)
	v_add_f64 v[17:18], v[0:1], -v[4:5]
	v_add_f64 v[19:20], v[2:3], v[6:7]
	v_add_f64 v[2:3], v[2:3], -v[6:7]
	v_add_f64 v[0:1], v[0:1], v[4:5]
	s_delay_alu instid0(VALU_DEP_4) | instskip(NEXT) | instid1(VALU_DEP_4)
	v_mul_f64 v[6:7], v[17:18], 0.5
	v_mul_f64 v[17:18], v[19:20], 0.5
	s_delay_alu instid0(VALU_DEP_4) | instskip(SKIP_1) | instid1(VALU_DEP_3)
	v_mul_f64 v[2:3], v[2:3], 0.5
	s_waitcnt vmcnt(1)
	v_mul_f64 v[4:5], v[6:7], v[15:16]
	s_delay_alu instid0(VALU_DEP_2) | instskip(SKIP_1) | instid1(VALU_DEP_3)
	v_fma_f64 v[19:20], v[17:18], v[15:16], v[2:3]
	v_fma_f64 v[15:16], v[17:18], v[15:16], -v[2:3]
	v_fma_f64 v[21:22], v[0:1], 0.5, v[4:5]
	v_fma_f64 v[4:5], v[0:1], 0.5, -v[4:5]
	s_delay_alu instid0(VALU_DEP_4) | instskip(NEXT) | instid1(VALU_DEP_4)
	v_fma_f64 v[2:3], -v[13:14], v[6:7], v[19:20]
	v_fma_f64 v[6:7], -v[13:14], v[6:7], v[15:16]
	s_delay_alu instid0(VALU_DEP_4) | instskip(NEXT) | instid1(VALU_DEP_4)
	v_fma_f64 v[0:1], v[17:18], v[13:14], v[21:22]
	v_fma_f64 v[4:5], -v[17:18], v[13:14], v[4:5]
	v_add_co_u32 v13, s0, s1, v72
	s_delay_alu instid0(VALU_DEP_1)
	v_add_co_ci_u32_e64 v14, s0, s4, v73, s0
	global_load_b128 v[13:16], v[13:14], off
	ds_store_b128 v195, v[0:3]
	ds_store_b128 v12, v[4:7] offset:39936
	ds_load_b128 v[0:3], v193
	ds_load_b128 v[4:7], v12 offset:38400
	s_waitcnt lgkmcnt(0)
	v_add_f64 v[17:18], v[0:1], -v[4:5]
	v_add_f64 v[19:20], v[2:3], v[6:7]
	v_add_f64 v[2:3], v[2:3], -v[6:7]
	v_add_f64 v[0:1], v[0:1], v[4:5]
	s_delay_alu instid0(VALU_DEP_4) | instskip(NEXT) | instid1(VALU_DEP_4)
	v_mul_f64 v[6:7], v[17:18], 0.5
	v_mul_f64 v[17:18], v[19:20], 0.5
	s_delay_alu instid0(VALU_DEP_4) | instskip(SKIP_1) | instid1(VALU_DEP_3)
	v_mul_f64 v[2:3], v[2:3], 0.5
	s_waitcnt vmcnt(1)
	v_mul_f64 v[4:5], v[6:7], v[10:11]
	s_delay_alu instid0(VALU_DEP_2) | instskip(SKIP_1) | instid1(VALU_DEP_3)
	v_fma_f64 v[19:20], v[17:18], v[10:11], v[2:3]
	v_fma_f64 v[10:11], v[17:18], v[10:11], -v[2:3]
	v_fma_f64 v[21:22], v[0:1], 0.5, v[4:5]
	v_fma_f64 v[4:5], v[0:1], 0.5, -v[4:5]
	s_delay_alu instid0(VALU_DEP_4) | instskip(NEXT) | instid1(VALU_DEP_4)
	v_fma_f64 v[2:3], -v[8:9], v[6:7], v[19:20]
	v_fma_f64 v[6:7], -v[8:9], v[6:7], v[10:11]
	s_delay_alu instid0(VALU_DEP_4) | instskip(NEXT) | instid1(VALU_DEP_4)
	v_fma_f64 v[0:1], v[17:18], v[8:9], v[21:22]
	v_fma_f64 v[4:5], -v[17:18], v[8:9], v[4:5]
	v_add_co_u32 v8, s0, s1, v82
	s_delay_alu instid0(VALU_DEP_1)
	v_add_co_ci_u32_e64 v9, s0, s4, v83, s0
	global_load_b128 v[8:11], v[8:9], off
	ds_store_b128 v193, v[0:3]
	ds_store_b128 v12, v[4:7] offset:38400
	ds_load_b128 v[0:3], v127
	ds_load_b128 v[4:7], v12 offset:36864
	s_waitcnt lgkmcnt(0)
	v_add_f64 v[17:18], v[0:1], -v[4:5]
	v_add_f64 v[19:20], v[2:3], v[6:7]
	v_add_f64 v[2:3], v[2:3], -v[6:7]
	v_add_f64 v[0:1], v[0:1], v[4:5]
	s_delay_alu instid0(VALU_DEP_4) | instskip(NEXT) | instid1(VALU_DEP_4)
	v_mul_f64 v[6:7], v[17:18], 0.5
	v_mul_f64 v[17:18], v[19:20], 0.5
	s_delay_alu instid0(VALU_DEP_4) | instskip(SKIP_1) | instid1(VALU_DEP_3)
	v_mul_f64 v[2:3], v[2:3], 0.5
	s_waitcnt vmcnt(1)
	v_mul_f64 v[4:5], v[6:7], v[15:16]
	s_delay_alu instid0(VALU_DEP_2) | instskip(SKIP_1) | instid1(VALU_DEP_3)
	v_fma_f64 v[19:20], v[17:18], v[15:16], v[2:3]
	v_fma_f64 v[15:16], v[17:18], v[15:16], -v[2:3]
	v_fma_f64 v[21:22], v[0:1], 0.5, v[4:5]
	v_fma_f64 v[4:5], v[0:1], 0.5, -v[4:5]
	s_delay_alu instid0(VALU_DEP_4) | instskip(NEXT) | instid1(VALU_DEP_4)
	v_fma_f64 v[2:3], -v[13:14], v[6:7], v[19:20]
	v_fma_f64 v[6:7], -v[13:14], v[6:7], v[15:16]
	s_delay_alu instid0(VALU_DEP_4) | instskip(NEXT) | instid1(VALU_DEP_4)
	v_fma_f64 v[0:1], v[17:18], v[13:14], v[21:22]
	v_fma_f64 v[4:5], -v[17:18], v[13:14], v[4:5]
	v_add_co_u32 v13, s0, s1, v80
	s_delay_alu instid0(VALU_DEP_1)
	v_add_co_ci_u32_e64 v14, s0, s4, v81, s0
	global_load_b128 v[13:16], v[13:14], off
	ds_store_b128 v127, v[0:3]
	ds_store_b128 v12, v[4:7] offset:36864
	ds_load_b128 v[0:3], v126
	ds_load_b128 v[4:7], v12 offset:35328
	s_waitcnt lgkmcnt(0)
	v_add_f64 v[17:18], v[0:1], -v[4:5]
	v_add_f64 v[19:20], v[2:3], v[6:7]
	v_add_f64 v[2:3], v[2:3], -v[6:7]
	v_add_f64 v[0:1], v[0:1], v[4:5]
	s_delay_alu instid0(VALU_DEP_4) | instskip(NEXT) | instid1(VALU_DEP_4)
	v_mul_f64 v[6:7], v[17:18], 0.5
	v_mul_f64 v[17:18], v[19:20], 0.5
	s_delay_alu instid0(VALU_DEP_4) | instskip(SKIP_1) | instid1(VALU_DEP_3)
	v_mul_f64 v[2:3], v[2:3], 0.5
	s_waitcnt vmcnt(1)
	v_mul_f64 v[4:5], v[6:7], v[10:11]
	s_delay_alu instid0(VALU_DEP_2) | instskip(SKIP_1) | instid1(VALU_DEP_3)
	v_fma_f64 v[19:20], v[17:18], v[10:11], v[2:3]
	v_fma_f64 v[10:11], v[17:18], v[10:11], -v[2:3]
	v_fma_f64 v[21:22], v[0:1], 0.5, v[4:5]
	v_fma_f64 v[4:5], v[0:1], 0.5, -v[4:5]
	s_delay_alu instid0(VALU_DEP_4) | instskip(NEXT) | instid1(VALU_DEP_4)
	v_fma_f64 v[2:3], -v[8:9], v[6:7], v[19:20]
	v_fma_f64 v[6:7], -v[8:9], v[6:7], v[10:11]
	s_delay_alu instid0(VALU_DEP_4) | instskip(NEXT) | instid1(VALU_DEP_4)
	v_fma_f64 v[0:1], v[17:18], v[8:9], v[21:22]
	v_fma_f64 v[4:5], -v[17:18], v[8:9], v[4:5]
	v_add_co_u32 v8, s0, s1, v78
	s_delay_alu instid0(VALU_DEP_1)
	v_add_co_ci_u32_e64 v9, s0, s4, v79, s0
	global_load_b128 v[8:11], v[8:9], off
	ds_store_b128 v126, v[0:3]
	ds_store_b128 v12, v[4:7] offset:35328
	ds_load_b128 v[0:3], v125
	ds_load_b128 v[4:7], v12 offset:33792
	s_waitcnt lgkmcnt(0)
	v_add_f64 v[17:18], v[0:1], -v[4:5]
	v_add_f64 v[19:20], v[2:3], v[6:7]
	v_add_f64 v[2:3], v[2:3], -v[6:7]
	v_add_f64 v[0:1], v[0:1], v[4:5]
	s_delay_alu instid0(VALU_DEP_4) | instskip(NEXT) | instid1(VALU_DEP_4)
	v_mul_f64 v[6:7], v[17:18], 0.5
	v_mul_f64 v[17:18], v[19:20], 0.5
	s_delay_alu instid0(VALU_DEP_4) | instskip(SKIP_1) | instid1(VALU_DEP_3)
	v_mul_f64 v[2:3], v[2:3], 0.5
	s_waitcnt vmcnt(1)
	v_mul_f64 v[4:5], v[6:7], v[15:16]
	s_delay_alu instid0(VALU_DEP_2) | instskip(SKIP_1) | instid1(VALU_DEP_3)
	v_fma_f64 v[19:20], v[17:18], v[15:16], v[2:3]
	v_fma_f64 v[15:16], v[17:18], v[15:16], -v[2:3]
	v_fma_f64 v[21:22], v[0:1], 0.5, v[4:5]
	v_fma_f64 v[4:5], v[0:1], 0.5, -v[4:5]
	s_delay_alu instid0(VALU_DEP_4) | instskip(NEXT) | instid1(VALU_DEP_4)
	v_fma_f64 v[2:3], -v[13:14], v[6:7], v[19:20]
	v_fma_f64 v[6:7], -v[13:14], v[6:7], v[15:16]
	s_delay_alu instid0(VALU_DEP_4) | instskip(NEXT) | instid1(VALU_DEP_4)
	v_fma_f64 v[0:1], v[17:18], v[13:14], v[21:22]
	v_fma_f64 v[4:5], -v[17:18], v[13:14], v[4:5]
	v_add_co_u32 v13, s0, s1, v76
	s_delay_alu instid0(VALU_DEP_1)
	v_add_co_ci_u32_e64 v14, s0, s4, v77, s0
	global_load_b128 v[13:16], v[13:14], off
	ds_store_b128 v125, v[0:3]
	ds_store_b128 v12, v[4:7] offset:33792
	ds_load_b128 v[0:3], v124
	ds_load_b128 v[4:7], v12 offset:32256
	s_waitcnt lgkmcnt(0)
	v_add_f64 v[17:18], v[0:1], -v[4:5]
	v_add_f64 v[19:20], v[2:3], v[6:7]
	v_add_f64 v[2:3], v[2:3], -v[6:7]
	v_add_f64 v[0:1], v[0:1], v[4:5]
	s_delay_alu instid0(VALU_DEP_4) | instskip(NEXT) | instid1(VALU_DEP_4)
	v_mul_f64 v[6:7], v[17:18], 0.5
	v_mul_f64 v[17:18], v[19:20], 0.5
	s_delay_alu instid0(VALU_DEP_4) | instskip(SKIP_1) | instid1(VALU_DEP_3)
	v_mul_f64 v[2:3], v[2:3], 0.5
	s_waitcnt vmcnt(1)
	v_mul_f64 v[4:5], v[6:7], v[10:11]
	s_delay_alu instid0(VALU_DEP_2) | instskip(SKIP_1) | instid1(VALU_DEP_3)
	v_fma_f64 v[19:20], v[17:18], v[10:11], v[2:3]
	v_fma_f64 v[10:11], v[17:18], v[10:11], -v[2:3]
	v_fma_f64 v[21:22], v[0:1], 0.5, v[4:5]
	v_fma_f64 v[4:5], v[0:1], 0.5, -v[4:5]
	s_delay_alu instid0(VALU_DEP_4) | instskip(NEXT) | instid1(VALU_DEP_4)
	v_fma_f64 v[2:3], -v[8:9], v[6:7], v[19:20]
	v_fma_f64 v[6:7], -v[8:9], v[6:7], v[10:11]
	s_delay_alu instid0(VALU_DEP_4) | instskip(NEXT) | instid1(VALU_DEP_4)
	v_fma_f64 v[0:1], v[17:18], v[8:9], v[21:22]
	v_fma_f64 v[4:5], -v[17:18], v[8:9], v[4:5]
	v_add_co_u32 v8, s0, s1, v74
	s_delay_alu instid0(VALU_DEP_1)
	v_add_co_ci_u32_e64 v9, s0, s4, v75, s0
	global_load_b128 v[8:11], v[8:9], off
	ds_store_b128 v124, v[0:3]
	ds_store_b128 v12, v[4:7] offset:32256
	ds_load_b128 v[0:3], v190
	ds_load_b128 v[4:7], v12 offset:30720
	s_waitcnt lgkmcnt(0)
	v_add_f64 v[17:18], v[0:1], -v[4:5]
	v_add_f64 v[19:20], v[2:3], v[6:7]
	v_add_f64 v[2:3], v[2:3], -v[6:7]
	v_add_f64 v[0:1], v[0:1], v[4:5]
	s_delay_alu instid0(VALU_DEP_4) | instskip(NEXT) | instid1(VALU_DEP_4)
	v_mul_f64 v[6:7], v[17:18], 0.5
	v_mul_f64 v[17:18], v[19:20], 0.5
	s_delay_alu instid0(VALU_DEP_4) | instskip(SKIP_1) | instid1(VALU_DEP_3)
	v_mul_f64 v[2:3], v[2:3], 0.5
	s_waitcnt vmcnt(1)
	v_mul_f64 v[4:5], v[6:7], v[15:16]
	s_delay_alu instid0(VALU_DEP_2) | instskip(SKIP_1) | instid1(VALU_DEP_3)
	v_fma_f64 v[19:20], v[17:18], v[15:16], v[2:3]
	v_fma_f64 v[15:16], v[17:18], v[15:16], -v[2:3]
	v_fma_f64 v[21:22], v[0:1], 0.5, v[4:5]
	v_fma_f64 v[4:5], v[0:1], 0.5, -v[4:5]
	s_delay_alu instid0(VALU_DEP_4) | instskip(NEXT) | instid1(VALU_DEP_4)
	v_fma_f64 v[2:3], -v[13:14], v[6:7], v[19:20]
	v_fma_f64 v[6:7], -v[13:14], v[6:7], v[15:16]
	s_delay_alu instid0(VALU_DEP_4) | instskip(NEXT) | instid1(VALU_DEP_4)
	v_fma_f64 v[0:1], v[17:18], v[13:14], v[21:22]
	v_fma_f64 v[4:5], -v[17:18], v[13:14], v[4:5]
	v_add_co_u32 v13, s0, s1, v58
	s_delay_alu instid0(VALU_DEP_1)
	v_add_co_ci_u32_e64 v14, s0, s4, v59, s0
	global_load_b128 v[13:16], v[13:14], off
	ds_store_b128 v190, v[0:3]
	ds_store_b128 v12, v[4:7] offset:30720
	ds_load_b128 v[0:3], v123
	ds_load_b128 v[4:7], v12 offset:29184
	s_waitcnt lgkmcnt(0)
	v_add_f64 v[17:18], v[0:1], -v[4:5]
	v_add_f64 v[19:20], v[2:3], v[6:7]
	v_add_f64 v[2:3], v[2:3], -v[6:7]
	v_add_f64 v[0:1], v[0:1], v[4:5]
	s_delay_alu instid0(VALU_DEP_4) | instskip(NEXT) | instid1(VALU_DEP_4)
	v_mul_f64 v[6:7], v[17:18], 0.5
	v_mul_f64 v[17:18], v[19:20], 0.5
	s_delay_alu instid0(VALU_DEP_4) | instskip(SKIP_1) | instid1(VALU_DEP_3)
	v_mul_f64 v[2:3], v[2:3], 0.5
	s_waitcnt vmcnt(1)
	v_mul_f64 v[4:5], v[6:7], v[10:11]
	s_delay_alu instid0(VALU_DEP_2) | instskip(SKIP_1) | instid1(VALU_DEP_3)
	v_fma_f64 v[19:20], v[17:18], v[10:11], v[2:3]
	v_fma_f64 v[10:11], v[17:18], v[10:11], -v[2:3]
	v_fma_f64 v[21:22], v[0:1], 0.5, v[4:5]
	v_fma_f64 v[4:5], v[0:1], 0.5, -v[4:5]
	s_delay_alu instid0(VALU_DEP_4) | instskip(NEXT) | instid1(VALU_DEP_4)
	v_fma_f64 v[2:3], -v[8:9], v[6:7], v[19:20]
	v_fma_f64 v[6:7], -v[8:9], v[6:7], v[10:11]
	s_delay_alu instid0(VALU_DEP_4) | instskip(NEXT) | instid1(VALU_DEP_4)
	v_fma_f64 v[0:1], v[17:18], v[8:9], v[21:22]
	v_fma_f64 v[4:5], -v[17:18], v[8:9], v[4:5]
	v_add_co_u32 v8, s0, s1, v54
	s_delay_alu instid0(VALU_DEP_1)
	v_add_co_ci_u32_e64 v9, s0, s4, v55, s0
	global_load_b128 v[8:11], v[8:9], off
	ds_store_b128 v123, v[0:3]
	ds_store_b128 v12, v[4:7] offset:29184
	ds_load_b128 v[0:3], v122
	ds_load_b128 v[4:7], v12 offset:27648
	s_waitcnt lgkmcnt(0)
	v_add_f64 v[17:18], v[0:1], -v[4:5]
	v_add_f64 v[19:20], v[2:3], v[6:7]
	v_add_f64 v[2:3], v[2:3], -v[6:7]
	v_add_f64 v[0:1], v[0:1], v[4:5]
	s_delay_alu instid0(VALU_DEP_4) | instskip(NEXT) | instid1(VALU_DEP_4)
	v_mul_f64 v[6:7], v[17:18], 0.5
	v_mul_f64 v[17:18], v[19:20], 0.5
	s_delay_alu instid0(VALU_DEP_4) | instskip(SKIP_1) | instid1(VALU_DEP_3)
	v_mul_f64 v[2:3], v[2:3], 0.5
	s_waitcnt vmcnt(1)
	v_mul_f64 v[4:5], v[6:7], v[15:16]
	s_delay_alu instid0(VALU_DEP_2) | instskip(SKIP_1) | instid1(VALU_DEP_3)
	v_fma_f64 v[19:20], v[17:18], v[15:16], v[2:3]
	v_fma_f64 v[15:16], v[17:18], v[15:16], -v[2:3]
	v_fma_f64 v[21:22], v[0:1], 0.5, v[4:5]
	v_fma_f64 v[4:5], v[0:1], 0.5, -v[4:5]
	s_delay_alu instid0(VALU_DEP_4) | instskip(NEXT) | instid1(VALU_DEP_4)
	v_fma_f64 v[2:3], -v[13:14], v[6:7], v[19:20]
	v_fma_f64 v[6:7], -v[13:14], v[6:7], v[15:16]
	s_delay_alu instid0(VALU_DEP_4) | instskip(NEXT) | instid1(VALU_DEP_4)
	v_fma_f64 v[0:1], v[17:18], v[13:14], v[21:22]
	v_fma_f64 v[4:5], -v[17:18], v[13:14], v[4:5]
	v_add_co_u32 v13, s0, s1, v50
	s_delay_alu instid0(VALU_DEP_1)
	v_add_co_ci_u32_e64 v14, s0, s4, v51, s0
	global_load_b128 v[13:16], v[13:14], off
	ds_store_b128 v122, v[0:3]
	ds_store_b128 v12, v[4:7] offset:27648
	ds_load_b128 v[0:3], v121
	ds_load_b128 v[4:7], v12 offset:26112
	s_waitcnt lgkmcnt(0)
	v_add_f64 v[17:18], v[0:1], -v[4:5]
	v_add_f64 v[19:20], v[2:3], v[6:7]
	v_add_f64 v[2:3], v[2:3], -v[6:7]
	v_add_f64 v[0:1], v[0:1], v[4:5]
	s_delay_alu instid0(VALU_DEP_4) | instskip(NEXT) | instid1(VALU_DEP_4)
	v_mul_f64 v[6:7], v[17:18], 0.5
	v_mul_f64 v[17:18], v[19:20], 0.5
	s_delay_alu instid0(VALU_DEP_4) | instskip(SKIP_1) | instid1(VALU_DEP_3)
	v_mul_f64 v[2:3], v[2:3], 0.5
	s_waitcnt vmcnt(1)
	v_mul_f64 v[4:5], v[6:7], v[10:11]
	s_delay_alu instid0(VALU_DEP_2) | instskip(SKIP_1) | instid1(VALU_DEP_3)
	v_fma_f64 v[19:20], v[17:18], v[10:11], v[2:3]
	v_fma_f64 v[10:11], v[17:18], v[10:11], -v[2:3]
	v_fma_f64 v[21:22], v[0:1], 0.5, v[4:5]
	v_fma_f64 v[4:5], v[0:1], 0.5, -v[4:5]
	s_delay_alu instid0(VALU_DEP_4) | instskip(NEXT) | instid1(VALU_DEP_4)
	v_fma_f64 v[2:3], -v[8:9], v[6:7], v[19:20]
	v_fma_f64 v[6:7], -v[8:9], v[6:7], v[10:11]
	s_delay_alu instid0(VALU_DEP_4) | instskip(NEXT) | instid1(VALU_DEP_4)
	v_fma_f64 v[0:1], v[17:18], v[8:9], v[21:22]
	v_fma_f64 v[4:5], -v[17:18], v[8:9], v[4:5]
	ds_store_b128 v121, v[0:3]
	ds_store_b128 v12, v[4:7] offset:26112
	ds_load_b128 v[0:3], v120
	ds_load_b128 v[4:7], v12 offset:24576
	s_waitcnt lgkmcnt(0)
	v_add_f64 v[8:9], v[0:1], -v[4:5]
	v_add_f64 v[10:11], v[2:3], v[6:7]
	v_add_f64 v[2:3], v[2:3], -v[6:7]
	v_add_f64 v[0:1], v[0:1], v[4:5]
	s_delay_alu instid0(VALU_DEP_4) | instskip(NEXT) | instid1(VALU_DEP_4)
	v_mul_f64 v[6:7], v[8:9], 0.5
	v_mul_f64 v[8:9], v[10:11], 0.5
	s_delay_alu instid0(VALU_DEP_4) | instskip(SKIP_1) | instid1(VALU_DEP_3)
	v_mul_f64 v[2:3], v[2:3], 0.5
	s_waitcnt vmcnt(0)
	v_mul_f64 v[4:5], v[6:7], v[15:16]
	s_delay_alu instid0(VALU_DEP_2) | instskip(SKIP_1) | instid1(VALU_DEP_3)
	v_fma_f64 v[10:11], v[8:9], v[15:16], v[2:3]
	v_fma_f64 v[15:16], v[8:9], v[15:16], -v[2:3]
	v_fma_f64 v[17:18], v[0:1], 0.5, v[4:5]
	v_fma_f64 v[4:5], v[0:1], 0.5, -v[4:5]
	s_delay_alu instid0(VALU_DEP_4) | instskip(NEXT) | instid1(VALU_DEP_4)
	v_fma_f64 v[2:3], -v[13:14], v[6:7], v[10:11]
	v_fma_f64 v[6:7], -v[13:14], v[6:7], v[15:16]
	s_delay_alu instid0(VALU_DEP_4) | instskip(NEXT) | instid1(VALU_DEP_4)
	v_fma_f64 v[0:1], v[8:9], v[13:14], v[17:18]
	v_fma_f64 v[4:5], -v[8:9], v[13:14], v[4:5]
	ds_store_b128 v120, v[0:3]
	ds_store_b128 v12, v[4:7] offset:24576
	s_waitcnt lgkmcnt(0)
	s_barrier
	buffer_gl0_inv
	s_and_saveexec_b32 s0, vcc_lo
	s_cbranch_execz .LBB0_20
; %bb.18:
	v_mul_lo_u32 v2, s3, v144
	v_mul_lo_u32 v3, s2, v145
	v_mad_u64_u32 v[0:1], null, s2, v144, 0
	v_lshl_add_u32 v28, v140, 4, 0
	v_dual_mov_b32 v141, 0 :: v_dual_add_nc_u32 v12, 0x60, v140
	v_lshlrev_b64 v[10:11], 4, v[142:143]
	v_add_nc_u32_e32 v26, 0x240, v140
	v_add_nc_u32_e32 v24, 0x1e0, v140
	v_add3_u32 v1, v1, v3, v2
	ds_load_b128 v[2:5], v28
	ds_load_b128 v[6:9], v28 offset:1536
	v_mov_b32_e32 v13, v141
	v_lshlrev_b64 v[14:15], 4, v[140:141]
	v_mov_b32_e32 v25, v141
	v_lshlrev_b64 v[0:1], 4, v[0:1]
	v_mov_b32_e32 v27, v141
	s_delay_alu instid0(VALU_DEP_3) | instskip(NEXT) | instid1(VALU_DEP_3)
	v_lshlrev_b64 v[24:25], 4, v[24:25]
	v_add_co_u32 v0, vcc_lo, s6, v0
	s_delay_alu instid0(VALU_DEP_4) | instskip(NEXT) | instid1(VALU_DEP_2)
	v_add_co_ci_u32_e32 v1, vcc_lo, s7, v1, vcc_lo
	v_add_co_u32 v0, vcc_lo, v0, v10
	s_delay_alu instid0(VALU_DEP_2) | instskip(SKIP_1) | instid1(VALU_DEP_3)
	v_add_co_ci_u32_e32 v1, vcc_lo, v1, v11, vcc_lo
	v_lshlrev_b64 v[10:11], 4, v[12:13]
	v_add_co_u32 v12, vcc_lo, v0, v14
	s_delay_alu instid0(VALU_DEP_3) | instskip(SKIP_1) | instid1(VALU_DEP_4)
	v_add_co_ci_u32_e32 v13, vcc_lo, v1, v15, vcc_lo
	v_add_nc_u32_e32 v14, 0xc0, v140
	v_add_co_u32 v10, vcc_lo, v0, v10
	v_mov_b32_e32 v15, v141
	v_add_co_ci_u32_e32 v11, vcc_lo, v1, v11, vcc_lo
	s_waitcnt lgkmcnt(1)
	global_store_b128 v[12:13], v[2:5], off
	s_waitcnt lgkmcnt(0)
	global_store_b128 v[10:11], v[6:9], off
	v_add_nc_u32_e32 v10, 0x120, v140
	v_lshlrev_b64 v[2:3], 4, v[14:15]
	v_dual_mov_b32 v11, v141 :: v_dual_add_nc_u32 v12, 0x180, v140
	v_mov_b32_e32 v13, v141
	s_delay_alu instid0(VALU_DEP_3) | instskip(NEXT) | instid1(VALU_DEP_4)
	v_add_co_u32 v18, vcc_lo, v0, v2
	v_add_co_ci_u32_e32 v19, vcc_lo, v1, v3, vcc_lo
	ds_load_b128 v[2:5], v28 offset:3072
	ds_load_b128 v[6:9], v28 offset:4608
	v_lshlrev_b64 v[20:21], 4, v[10:11]
	v_lshlrev_b64 v[22:23], 4, v[12:13]
	ds_load_b128 v[10:13], v28 offset:6144
	ds_load_b128 v[14:17], v28 offset:7680
	v_add_co_u32 v20, vcc_lo, v0, v20
	v_add_co_ci_u32_e32 v21, vcc_lo, v1, v21, vcc_lo
	v_add_co_u32 v22, vcc_lo, v0, v22
	v_add_co_ci_u32_e32 v23, vcc_lo, v1, v23, vcc_lo
	;; [unrolled: 2-line block ×3, first 2 shown]
	s_waitcnt lgkmcnt(3)
	global_store_b128 v[18:19], v[2:5], off
	s_waitcnt lgkmcnt(2)
	global_store_b128 v[20:21], v[6:9], off
	;; [unrolled: 2-line block ×4, first 2 shown]
	v_add_nc_u32_e32 v10, 0x2a0, v140
	v_lshlrev_b64 v[2:3], 4, v[26:27]
	v_dual_mov_b32 v11, v141 :: v_dual_add_nc_u32 v12, 0x300, v140
	v_dual_mov_b32 v13, v141 :: v_dual_add_nc_u32 v24, 0x360, v140
	;; [unrolled: 1-line block ×3, first 2 shown]
	s_delay_alu instid0(VALU_DEP_4)
	v_add_co_u32 v18, vcc_lo, v0, v2
	v_add_co_ci_u32_e32 v19, vcc_lo, v1, v3, vcc_lo
	ds_load_b128 v[2:5], v28 offset:9216
	ds_load_b128 v[6:9], v28 offset:10752
	v_lshlrev_b64 v[20:21], 4, v[10:11]
	v_lshlrev_b64 v[22:23], 4, v[12:13]
	ds_load_b128 v[10:13], v28 offset:12288
	ds_load_b128 v[14:17], v28 offset:13824
	v_lshlrev_b64 v[24:25], 4, v[24:25]
	v_add_co_u32 v20, vcc_lo, v0, v20
	v_add_co_ci_u32_e32 v21, vcc_lo, v1, v21, vcc_lo
	v_add_co_u32 v22, vcc_lo, v0, v22
	v_add_co_ci_u32_e32 v23, vcc_lo, v1, v23, vcc_lo
	;; [unrolled: 2-line block ×3, first 2 shown]
	s_waitcnt lgkmcnt(3)
	global_store_b128 v[18:19], v[2:5], off
	s_waitcnt lgkmcnt(2)
	global_store_b128 v[20:21], v[6:9], off
	s_waitcnt lgkmcnt(1)
	global_store_b128 v[22:23], v[10:13], off
	s_waitcnt lgkmcnt(0)
	global_store_b128 v[24:25], v[14:17], off
	v_lshlrev_b64 v[2:3], 4, v[26:27]
	v_dual_mov_b32 v11, v141 :: v_dual_add_nc_u32 v10, 0x420, v140
	v_dual_mov_b32 v13, v141 :: v_dual_add_nc_u32 v12, 0x480, v140
	;; [unrolled: 1-line block ×3, first 2 shown]
	s_delay_alu instid0(VALU_DEP_4)
	v_add_co_u32 v18, vcc_lo, v0, v2
	v_add_co_ci_u32_e32 v19, vcc_lo, v1, v3, vcc_lo
	ds_load_b128 v[2:5], v28 offset:15360
	ds_load_b128 v[6:9], v28 offset:16896
	v_lshlrev_b64 v[20:21], 4, v[10:11]
	v_lshlrev_b64 v[22:23], 4, v[12:13]
	ds_load_b128 v[10:13], v28 offset:18432
	ds_load_b128 v[14:17], v28 offset:19968
	v_lshlrev_b64 v[24:25], 4, v[24:25]
	v_add_nc_u32_e32 v26, 0x540, v140
	v_add_co_u32 v20, vcc_lo, v0, v20
	v_add_co_ci_u32_e32 v21, vcc_lo, v1, v21, vcc_lo
	v_add_co_u32 v22, vcc_lo, v0, v22
	v_add_co_ci_u32_e32 v23, vcc_lo, v1, v23, vcc_lo
	v_add_co_u32 v24, vcc_lo, v0, v24
	v_add_co_ci_u32_e32 v25, vcc_lo, v1, v25, vcc_lo
	s_waitcnt lgkmcnt(3)
	global_store_b128 v[18:19], v[2:5], off
	s_waitcnt lgkmcnt(2)
	global_store_b128 v[20:21], v[6:9], off
	s_waitcnt lgkmcnt(1)
	global_store_b128 v[22:23], v[10:13], off
	s_waitcnt lgkmcnt(0)
	global_store_b128 v[24:25], v[14:17], off
	v_mov_b32_e32 v11, v141
	v_lshlrev_b64 v[2:3], 4, v[26:27]
	v_dual_mov_b32 v13, v141 :: v_dual_add_nc_u32 v10, 0x5a0, v140
	v_dual_mov_b32 v25, v141 :: v_dual_add_nc_u32 v12, 0x600, v140
	v_add_nc_u32_e32 v24, 0x660, v140
	s_delay_alu instid0(VALU_DEP_4)
	v_add_co_u32 v18, vcc_lo, v0, v2
	v_add_co_ci_u32_e32 v19, vcc_lo, v1, v3, vcc_lo
	ds_load_b128 v[2:5], v28 offset:21504
	ds_load_b128 v[6:9], v28 offset:23040
	v_lshlrev_b64 v[20:21], 4, v[10:11]
	v_lshlrev_b64 v[22:23], 4, v[12:13]
	ds_load_b128 v[10:13], v28 offset:24576
	ds_load_b128 v[14:17], v28 offset:26112
	v_lshlrev_b64 v[24:25], 4, v[24:25]
	v_add_nc_u32_e32 v26, 0x6c0, v140
	v_add_co_u32 v20, vcc_lo, v0, v20
	v_add_co_ci_u32_e32 v21, vcc_lo, v1, v21, vcc_lo
	v_add_co_u32 v22, vcc_lo, v0, v22
	v_add_co_ci_u32_e32 v23, vcc_lo, v1, v23, vcc_lo
	v_add_co_u32 v24, vcc_lo, v0, v24
	v_add_co_ci_u32_e32 v25, vcc_lo, v1, v25, vcc_lo
	s_waitcnt lgkmcnt(3)
	global_store_b128 v[18:19], v[2:5], off
	s_waitcnt lgkmcnt(2)
	global_store_b128 v[20:21], v[6:9], off
	s_waitcnt lgkmcnt(1)
	global_store_b128 v[22:23], v[10:13], off
	s_waitcnt lgkmcnt(0)
	global_store_b128 v[24:25], v[14:17], off
	v_mov_b32_e32 v13, v141
	v_lshlrev_b64 v[2:3], 4, v[26:27]
	v_dual_mov_b32 v25, v141 :: v_dual_add_nc_u32 v10, 0x720, v140
	v_dual_mov_b32 v11, v141 :: v_dual_add_nc_u32 v12, 0x780, v140
	v_add_nc_u32_e32 v24, 0x7e0, v140
	;; [unrolled: 30-line block ×4, first 2 shown]
	s_delay_alu instid0(VALU_DEP_4)
	v_add_co_u32 v18, vcc_lo, v0, v2
	v_add_co_ci_u32_e32 v19, vcc_lo, v1, v3, vcc_lo
	ds_load_b128 v[2:5], v28 offset:39936
	ds_load_b128 v[6:9], v28 offset:41472
	v_lshlrev_b64 v[20:21], 4, v[10:11]
	v_lshlrev_b64 v[22:23], 4, v[12:13]
	ds_load_b128 v[10:13], v28 offset:43008
	ds_load_b128 v[14:17], v28 offset:44544
	v_lshlrev_b64 v[24:25], 4, v[24:25]
	v_add_co_u32 v20, vcc_lo, v0, v20
	v_add_co_ci_u32_e32 v21, vcc_lo, v1, v21, vcc_lo
	v_add_co_u32 v22, vcc_lo, v0, v22
	v_add_co_ci_u32_e32 v23, vcc_lo, v1, v23, vcc_lo
	;; [unrolled: 2-line block ×3, first 2 shown]
	v_cmp_eq_u32_e32 vcc_lo, 0x5f, v140
	s_waitcnt lgkmcnt(3)
	global_store_b128 v[18:19], v[2:5], off
	s_waitcnt lgkmcnt(2)
	global_store_b128 v[20:21], v[6:9], off
	;; [unrolled: 2-line block ×4, first 2 shown]
	s_and_b32 exec_lo, exec_lo, vcc_lo
	s_cbranch_execz .LBB0_20
; %bb.19:
	ds_load_b128 v[2:5], v141 offset:46080
	v_add_co_u32 v0, vcc_lo, 0xb000, v0
	v_add_co_ci_u32_e32 v1, vcc_lo, 0, v1, vcc_lo
	s_waitcnt lgkmcnt(0)
	global_store_b128 v[0:1], v[2:5], off offset:1024
.LBB0_20:
	s_nop 0
	s_sendmsg sendmsg(MSG_DEALLOC_VGPRS)
	s_endpgm
	.section	.rodata,"a",@progbits
	.p2align	6, 0x0
	.amdhsa_kernel fft_rtc_back_len2880_factors_10_6_6_2_2_2_wgs_96_tpt_96_halfLds_dp_op_CI_CI_unitstride_sbrr_R2C_dirReg
		.amdhsa_group_segment_fixed_size 0
		.amdhsa_private_segment_fixed_size 0
		.amdhsa_kernarg_size 104
		.amdhsa_user_sgpr_count 15
		.amdhsa_user_sgpr_dispatch_ptr 0
		.amdhsa_user_sgpr_queue_ptr 0
		.amdhsa_user_sgpr_kernarg_segment_ptr 1
		.amdhsa_user_sgpr_dispatch_id 0
		.amdhsa_user_sgpr_private_segment_size 0
		.amdhsa_wavefront_size32 1
		.amdhsa_uses_dynamic_stack 0
		.amdhsa_enable_private_segment 0
		.amdhsa_system_sgpr_workgroup_id_x 1
		.amdhsa_system_sgpr_workgroup_id_y 0
		.amdhsa_system_sgpr_workgroup_id_z 0
		.amdhsa_system_sgpr_workgroup_info 0
		.amdhsa_system_vgpr_workitem_id 0
		.amdhsa_next_free_vgpr 247
		.amdhsa_next_free_sgpr 27
		.amdhsa_reserve_vcc 1
		.amdhsa_float_round_mode_32 0
		.amdhsa_float_round_mode_16_64 0
		.amdhsa_float_denorm_mode_32 3
		.amdhsa_float_denorm_mode_16_64 3
		.amdhsa_dx10_clamp 1
		.amdhsa_ieee_mode 1
		.amdhsa_fp16_overflow 0
		.amdhsa_workgroup_processor_mode 1
		.amdhsa_memory_ordered 1
		.amdhsa_forward_progress 0
		.amdhsa_shared_vgpr_count 0
		.amdhsa_exception_fp_ieee_invalid_op 0
		.amdhsa_exception_fp_denorm_src 0
		.amdhsa_exception_fp_ieee_div_zero 0
		.amdhsa_exception_fp_ieee_overflow 0
		.amdhsa_exception_fp_ieee_underflow 0
		.amdhsa_exception_fp_ieee_inexact 0
		.amdhsa_exception_int_div_zero 0
	.end_amdhsa_kernel
	.text
.Lfunc_end0:
	.size	fft_rtc_back_len2880_factors_10_6_6_2_2_2_wgs_96_tpt_96_halfLds_dp_op_CI_CI_unitstride_sbrr_R2C_dirReg, .Lfunc_end0-fft_rtc_back_len2880_factors_10_6_6_2_2_2_wgs_96_tpt_96_halfLds_dp_op_CI_CI_unitstride_sbrr_R2C_dirReg
                                        ; -- End function
	.section	.AMDGPU.csdata,"",@progbits
; Kernel info:
; codeLenInByte = 27696
; NumSgprs: 29
; NumVgprs: 247
; ScratchSize: 0
; MemoryBound: 0
; FloatMode: 240
; IeeeMode: 1
; LDSByteSize: 0 bytes/workgroup (compile time only)
; SGPRBlocks: 3
; VGPRBlocks: 30
; NumSGPRsForWavesPerEU: 29
; NumVGPRsForWavesPerEU: 247
; Occupancy: 5
; WaveLimiterHint : 1
; COMPUTE_PGM_RSRC2:SCRATCH_EN: 0
; COMPUTE_PGM_RSRC2:USER_SGPR: 15
; COMPUTE_PGM_RSRC2:TRAP_HANDLER: 0
; COMPUTE_PGM_RSRC2:TGID_X_EN: 1
; COMPUTE_PGM_RSRC2:TGID_Y_EN: 0
; COMPUTE_PGM_RSRC2:TGID_Z_EN: 0
; COMPUTE_PGM_RSRC2:TIDIG_COMP_CNT: 0
	.text
	.p2alignl 7, 3214868480
	.fill 96, 4, 3214868480
	.type	__hip_cuid_f83b90a41f39b8f1,@object ; @__hip_cuid_f83b90a41f39b8f1
	.section	.bss,"aw",@nobits
	.globl	__hip_cuid_f83b90a41f39b8f1
__hip_cuid_f83b90a41f39b8f1:
	.byte	0                               ; 0x0
	.size	__hip_cuid_f83b90a41f39b8f1, 1

	.ident	"AMD clang version 19.0.0git (https://github.com/RadeonOpenCompute/llvm-project roc-6.4.0 25133 c7fe45cf4b819c5991fe208aaa96edf142730f1d)"
	.section	".note.GNU-stack","",@progbits
	.addrsig
	.addrsig_sym __hip_cuid_f83b90a41f39b8f1
	.amdgpu_metadata
---
amdhsa.kernels:
  - .args:
      - .actual_access:  read_only
        .address_space:  global
        .offset:         0
        .size:           8
        .value_kind:     global_buffer
      - .offset:         8
        .size:           8
        .value_kind:     by_value
      - .actual_access:  read_only
        .address_space:  global
        .offset:         16
        .size:           8
        .value_kind:     global_buffer
      - .actual_access:  read_only
        .address_space:  global
        .offset:         24
        .size:           8
        .value_kind:     global_buffer
      - .actual_access:  read_only
        .address_space:  global
        .offset:         32
        .size:           8
        .value_kind:     global_buffer
      - .offset:         40
        .size:           8
        .value_kind:     by_value
      - .actual_access:  read_only
        .address_space:  global
        .offset:         48
        .size:           8
        .value_kind:     global_buffer
      - .actual_access:  read_only
        .address_space:  global
        .offset:         56
        .size:           8
        .value_kind:     global_buffer
      - .offset:         64
        .size:           4
        .value_kind:     by_value
      - .actual_access:  read_only
        .address_space:  global
        .offset:         72
        .size:           8
        .value_kind:     global_buffer
      - .actual_access:  read_only
        .address_space:  global
        .offset:         80
        .size:           8
        .value_kind:     global_buffer
      - .actual_access:  read_only
        .address_space:  global
        .offset:         88
        .size:           8
        .value_kind:     global_buffer
      - .actual_access:  write_only
        .address_space:  global
        .offset:         96
        .size:           8
        .value_kind:     global_buffer
    .group_segment_fixed_size: 0
    .kernarg_segment_align: 8
    .kernarg_segment_size: 104
    .language:       OpenCL C
    .language_version:
      - 2
      - 0
    .max_flat_workgroup_size: 96
    .name:           fft_rtc_back_len2880_factors_10_6_6_2_2_2_wgs_96_tpt_96_halfLds_dp_op_CI_CI_unitstride_sbrr_R2C_dirReg
    .private_segment_fixed_size: 0
    .sgpr_count:     29
    .sgpr_spill_count: 0
    .symbol:         fft_rtc_back_len2880_factors_10_6_6_2_2_2_wgs_96_tpt_96_halfLds_dp_op_CI_CI_unitstride_sbrr_R2C_dirReg.kd
    .uniform_work_group_size: 1
    .uses_dynamic_stack: false
    .vgpr_count:     247
    .vgpr_spill_count: 0
    .wavefront_size: 32
    .workgroup_processor_mode: 1
amdhsa.target:   amdgcn-amd-amdhsa--gfx1100
amdhsa.version:
  - 1
  - 2
...

	.end_amdgpu_metadata
